;; amdgpu-corpus repo=ROCm/rocFFT kind=compiled arch=gfx1030 opt=O3
	.text
	.amdgcn_target "amdgcn-amd-amdhsa--gfx1030"
	.amdhsa_code_object_version 6
	.protected	bluestein_single_back_len714_dim1_sp_op_CI_CI ; -- Begin function bluestein_single_back_len714_dim1_sp_op_CI_CI
	.globl	bluestein_single_back_len714_dim1_sp_op_CI_CI
	.p2align	8
	.type	bluestein_single_back_len714_dim1_sp_op_CI_CI,@function
bluestein_single_back_len714_dim1_sp_op_CI_CI: ; @bluestein_single_back_len714_dim1_sp_op_CI_CI
; %bb.0:
	s_load_dwordx4 s[8:11], s[4:5], 0x28
	v_mul_u32_u24_e32 v1, 0x506, v0
	s_mov_b64 s[18:19], s[2:3]
	s_mov_b64 s[16:17], s[0:1]
	v_mov_b32_e32 v242, 0
	s_add_u32 s16, s16, s7
	v_lshrrev_b32_e32 v1, 16, v1
	s_addc_u32 s17, s17, 0
	s_mov_b32 s0, exec_lo
	v_add_nc_u32_e32 v241, s6, v1
	s_waitcnt lgkmcnt(0)
	v_cmpx_gt_u64_e64 s[8:9], v[241:242]
	s_cbranch_execz .LBB0_23
; %bb.1:
	s_clause 0x1
	s_load_dwordx4 s[0:3], s[4:5], 0x18
	s_load_dwordx2 s[6:7], s[4:5], 0x0
	v_mul_lo_u16 v1, v1, 51
	v_sub_nc_u16 v32, v0, v1
	v_and_b32_e32 v132, 0xffff, v32
	v_lshlrev_b32_e32 v131, 3, v132
	s_waitcnt lgkmcnt(0)
	s_load_dwordx4 s[12:15], s[0:1], 0x0
	v_add_co_u32 v78, s0, s6, v131
	v_add_co_ci_u32_e64 v79, null, s7, 0, s0
	global_load_dwordx2 v[101:102], v131, s[6:7] offset:1904
	v_add_co_u32 v82, vcc_lo, 0x800, v78
	v_add_co_ci_u32_e32 v83, vcc_lo, 0, v79, vcc_lo
	v_add_co_u32 v80, vcc_lo, 0x1000, v78
	v_add_co_ci_u32_e32 v81, vcc_lo, 0, v79, vcc_lo
	s_clause 0x8
	global_load_dwordx2 v[105:106], v131, s[6:7]
	global_load_dwordx2 v[97:98], v131, s[6:7] offset:408
	global_load_dwordx2 v[86:87], v131, s[6:7] offset:816
	;; [unrolled: 1-line block ×3, first 2 shown]
	global_load_dwordx2 v[107:108], v[82:83], off offset:1760
	global_load_dwordx2 v[103:104], v[82:83], off offset:264
	global_load_dwordx2 v[89:90], v[82:83], off offset:672
	global_load_dwordx2 v[99:100], v[80:81], off offset:120
	global_load_dwordx2 v[91:92], v[80:81], off offset:528
	s_waitcnt lgkmcnt(0)
	v_mad_u64_u32 v[0:1], null, s14, v241, 0
	v_mad_u64_u32 v[2:3], null, s12, v132, 0
	s_mul_i32 s1, s13, 0xee
	s_mul_hi_u32 s7, s12, 0xee
	s_mul_i32 s0, s12, 0xee
	s_mul_hi_u32 s9, s12, 0xfffffe57
	s_add_i32 s1, s7, s1
	s_mul_i32 s8, s13, 0xfffffe57
	v_mad_u64_u32 v[4:5], null, s15, v241, v[1:2]
	s_mul_i32 s6, s12, 0xfffffe57
	s_sub_i32 s7, s9, s12
	s_add_i32 s7, s7, s8
	v_mad_u64_u32 v[5:6], null, s13, v132, v[3:4]
	v_mov_b32_e32 v1, v4
	s_lshl_b64 s[12:13], s[0:1], 3
	s_lshl_b64 s[0:1], s[6:7], 3
	v_lshlrev_b64 v[0:1], 3, v[0:1]
	v_mov_b32_e32 v3, v5
	v_add_co_u32 v0, vcc_lo, s10, v0
	v_lshlrev_b64 v[2:3], 3, v[2:3]
	v_add_co_ci_u32_e32 v1, vcc_lo, s11, v1, vcc_lo
	v_add_co_u32 v0, vcc_lo, v0, v2
	v_add_co_ci_u32_e32 v1, vcc_lo, v1, v3, vcc_lo
	v_add_co_u32 v2, vcc_lo, v0, s12
	v_add_co_ci_u32_e32 v3, vcc_lo, s13, v1, vcc_lo
	s_clause 0x1
	global_load_dwordx2 v[8:9], v[0:1], off
	global_load_dwordx2 v[10:11], v[2:3], off
	v_add_co_u32 v4, vcc_lo, v2, s12
	v_add_co_ci_u32_e32 v5, vcc_lo, s13, v3, vcc_lo
	v_add_co_u32 v6, vcc_lo, v4, s0
	v_add_co_ci_u32_e32 v7, vcc_lo, s1, v5, vcc_lo
	;; [unrolled: 2-line block ×3, first 2 shown]
	s_clause 0x1
	global_load_dwordx2 v[12:13], v[4:5], off
	global_load_dwordx2 v[5:6], v[6:7], off
	v_add_co_u32 v2, vcc_lo, v0, s12
	v_add_co_ci_u32_e32 v3, vcc_lo, s13, v1, vcc_lo
	global_load_dwordx2 v[14:15], v[0:1], off
	v_add_co_u32 v0, vcc_lo, v2, s0
	v_add_co_ci_u32_e32 v1, vcc_lo, s1, v3, vcc_lo
	global_load_dwordx2 v[16:17], v[2:3], off
	v_add_co_u32 v2, vcc_lo, v0, s12
	v_add_co_ci_u32_e32 v3, vcc_lo, s13, v1, vcc_lo
	global_load_dwordx2 v[18:19], v[0:1], off
	v_add_co_u32 v0, vcc_lo, v2, s12
	v_add_co_ci_u32_e32 v1, vcc_lo, s13, v3, vcc_lo
	global_load_dwordx2 v[20:21], v[2:3], off
	v_add_co_u32 v2, vcc_lo, v0, s0
	v_add_co_ci_u32_e32 v3, vcc_lo, s1, v1, vcc_lo
	global_load_dwordx2 v[22:23], v[0:1], off
	v_add_co_u32 v24, vcc_lo, v2, s12
	v_add_co_ci_u32_e32 v25, vcc_lo, s13, v3, vcc_lo
	global_load_dwordx2 v[26:27], v[2:3], off
	v_add_co_u32 v0, vcc_lo, v24, s12
	v_add_co_ci_u32_e32 v1, vcc_lo, s13, v25, vcc_lo
	global_load_dwordx2 v[93:94], v[82:83], off offset:1080
	global_load_dwordx2 v[24:25], v[24:25], off
	global_load_dwordx2 v[95:96], v[80:81], off offset:936
	global_load_dwordx2 v[28:29], v[0:1], off
	s_load_dwordx2 s[6:7], s[4:5], 0x38
	s_load_dwordx4 s[8:11], s[2:3], 0x0
	v_add_nc_u32_e32 v2, 0x800, v131
	v_add_nc_u32_e32 v4, 0x1000, v131
	v_cmp_gt_u16_e32 vcc_lo, 34, v32
	s_waitcnt vmcnt(13)
	v_mul_f32_e32 v7, v9, v106
	v_mul_f32_e32 v3, v8, v106
	s_waitcnt vmcnt(12)
	v_mul_f32_e32 v31, v10, v102
	v_mul_f32_e32 v30, v11, v102
	v_fmac_f32_e32 v7, v8, v105
	v_fma_f32 v8, v9, v105, -v3
	v_fma_f32 v31, v11, v101, -v31
	v_fmac_f32_e32 v30, v10, v101
	ds_write_b64 v131, v[30:31] offset:1904
	s_waitcnt vmcnt(11)
	v_mul_f32_e32 v3, v12, v108
	v_mul_f32_e32 v9, v13, v108
	s_waitcnt vmcnt(10)
	v_mul_f32_e32 v11, v6, v98
	v_mul_f32_e32 v33, v5, v98
	v_fma_f32 v10, v13, v107, -v3
	s_waitcnt vmcnt(9)
	v_mul_f32_e32 v3, v14, v104
	v_fmac_f32_e32 v9, v12, v107
	v_fmac_f32_e32 v11, v5, v97
	v_fma_f32 v12, v6, v97, -v33
	v_mul_f32_e32 v5, v15, v104
	v_fma_f32 v6, v15, v103, -v3
	s_waitcnt vmcnt(8)
	v_mul_f32_e32 v3, v16, v100
	ds_write_b64 v131, v[9:10] offset:3808
	ds_write2_b64 v131, v[7:8], v[11:12] offset1:51
	v_fmac_f32_e32 v5, v14, v103
	v_mul_f32_e32 v9, v17, v100
	v_fma_f32 v10, v17, v99, -v3
	s_waitcnt vmcnt(7)
	v_mul_f32_e32 v3, v18, v87
	v_mul_f32_e32 v7, v19, v87
	s_waitcnt vmcnt(6)
	v_mul_f32_e32 v11, v21, v90
	v_mul_f32_e32 v8, v20, v90
	v_fmac_f32_e32 v9, v16, v99
	v_fmac_f32_e32 v7, v18, v86
	;; [unrolled: 1-line block ×3, first 2 shown]
	v_fma_f32 v12, v21, v89, -v8
	s_waitcnt vmcnt(5)
	v_mul_f32_e32 v13, v23, v92
	v_mul_f32_e32 v14, v22, v92
	v_fma_f32 v8, v19, v86, -v3
	s_waitcnt vmcnt(4)
	v_mul_f32_e32 v15, v27, v85
	v_mul_f32_e32 v3, v26, v85
	ds_write2_b64 v2, v[5:6], v[11:12] offset0:33 offset1:84
	s_waitcnt vmcnt(2)
	v_mul_f32_e32 v5, v25, v94
	v_mul_f32_e32 v6, v24, v94
	s_waitcnt vmcnt(0)
	v_mul_f32_e32 v11, v29, v96
	v_mul_f32_e32 v12, v28, v96
	v_fmac_f32_e32 v13, v22, v91
	v_fma_f32 v14, v23, v91, -v14
	v_fmac_f32_e32 v15, v26, v84
	v_fma_f32 v16, v27, v84, -v3
	;; [unrolled: 2-line block ×4, first 2 shown]
	ds_write2_b64 v4, v[9:10], v[13:14] offset0:15 offset1:66
	ds_write2_b64 v131, v[7:8], v[15:16] offset0:102 offset1:153
	ds_write_b64 v131, v[5:6] offset:3128
	ds_write_b64 v131, v[11:12] offset:5032
	s_and_saveexec_b32 s2, vcc_lo
	s_cbranch_execz .LBB0_3
; %bb.2:
	v_add_co_u32 v0, s0, v0, s0
	v_add_co_ci_u32_e64 v1, s0, s1, v1, s0
	global_load_dwordx2 v[7:8], v[78:79], off offset:1632
	v_add_nc_u32_e32 v3, 0x600, v131
	global_load_dwordx2 v[5:6], v[0:1], off
	v_add_co_u32 v0, s0, v0, s12
	v_add_co_ci_u32_e64 v1, s0, s13, v1, s0
	v_add_co_u32 v9, s0, v0, s12
	v_add_co_ci_u32_e64 v10, s0, s13, v1, s0
	global_load_dwordx2 v[0:1], v[0:1], off
	s_clause 0x1
	global_load_dwordx2 v[11:12], v[82:83], off offset:1488
	global_load_dwordx2 v[13:14], v[80:81], off offset:1344
	global_load_dwordx2 v[9:10], v[9:10], off
	s_waitcnt vmcnt(4)
	v_mul_f32_e32 v15, v6, v8
	v_mul_f32_e32 v16, v5, v8
	v_fmac_f32_e32 v15, v5, v7
	v_fma_f32 v16, v6, v7, -v16
	s_waitcnt vmcnt(2)
	v_mul_f32_e32 v5, v1, v12
	v_mul_f32_e32 v12, v0, v12
	s_waitcnt vmcnt(0)
	v_mul_f32_e32 v8, v10, v14
	v_mul_f32_e32 v14, v9, v14
	v_fmac_f32_e32 v5, v0, v11
	v_fma_f32 v6, v1, v11, -v12
	v_fmac_f32_e32 v8, v9, v13
	v_fma_f32 v9, v10, v13, -v14
	ds_write2_b64 v3, v[15:16], v[5:6] offset0:12 offset1:250
	ds_write_b64 v131, v[8:9] offset:5440
.LBB0_3:
	s_or_b32 exec_lo, exec_lo, s2
	v_add_nc_u32_e32 v0, 0x400, v131
	v_add_nc_u32_e32 v1, 0xc00, v131
	s_waitcnt lgkmcnt(0)
	s_barrier
	buffer_gl0_inv
	ds_read2_b64 v[36:39], v131 offset1:51
	ds_read2_b64 v[12:15], v0 offset0:110 offset1:161
	ds_read2_b64 v[8:11], v1 offset0:92 offset1:143
	;; [unrolled: 1-line block ×5, first 2 shown]
                                        ; implicit-def: $vgpr46
                                        ; implicit-def: $vgpr16
	s_and_saveexec_b32 s0, vcc_lo
	s_cbranch_execz .LBB0_5
; %bb.4:
	v_add_nc_u32_e32 v16, 0x600, v131
	ds_read2_b64 v[44:47], v16 offset0:12 offset1:250
	ds_read_b64 v[16:17], v131 offset:5440
.LBB0_5:
	s_or_b32 exec_lo, exec_lo, s0
	s_waitcnt lgkmcnt(3)
	v_add_f32_e32 v21, v12, v8
	v_add_f32_e32 v22, v36, v12
	;; [unrolled: 1-line block ×3, first 2 shown]
	s_load_dwordx2 s[2:3], s[4:5], 0x8
	v_add_nc_u32_e32 v18, 51, v132
	v_fma_f32 v48, -0.5, v21, v36
	v_sub_f32_e32 v21, v13, v9
	v_add_f32_e32 v32, v22, v8
	v_add_f32_e32 v13, v37, v13
	v_fma_f32 v49, -0.5, v24, v37
	v_sub_f32_e32 v8, v12, v8
	v_add_f32_e32 v12, v38, v14
	v_add_nc_u32_e32 v19, 0x66, v132
	v_add_f32_e32 v33, v13, v9
	v_add_f32_e32 v9, v14, v10
	v_fmamk_f32 v35, v8, 0xbf5db3d7, v49
	v_fmac_f32_e32 v49, 0x3f5db3d7, v8
	v_add_f32_e32 v8, v15, v11
	v_add_f32_e32 v36, v12, v10
	v_fma_f32 v38, -0.5, v9, v38
	v_sub_f32_e32 v9, v15, v11
	v_add_f32_e32 v12, v39, v15
	v_fmac_f32_e32 v39, -0.5, v8
	v_sub_f32_e32 v8, v14, v10
	s_waitcnt lgkmcnt(0)
	v_add_f32_e32 v10, v40, v0
	v_fmamk_f32 v64, v9, 0x3f5db3d7, v38
	v_fmac_f32_e32 v38, 0xbf5db3d7, v9
	v_add_f32_e32 v9, v0, v4
	v_fmamk_f32 v65, v8, 0xbf5db3d7, v39
	v_fmac_f32_e32 v39, 0x3f5db3d7, v8
	v_add_f32_e32 v8, v1, v5
	v_sub_f32_e32 v0, v0, v4
	v_fma_f32 v52, -0.5, v9, v40
	v_sub_f32_e32 v9, v1, v5
	v_add_f32_e32 v1, v41, v1
	v_fma_f32 v53, -0.5, v8, v41
	v_add_f32_e32 v56, v10, v4
	v_add_f32_e32 v4, v42, v2
	v_add_nc_u32_e32 v20, 0x99, v132
	v_add_f32_e32 v57, v1, v5
	v_add_f32_e32 v1, v2, v6
	v_fmamk_f32 v59, v0, 0xbf5db3d7, v53
	v_fmac_f32_e32 v53, 0x3f5db3d7, v0
	v_add_f32_e32 v0, v3, v7
	v_add_co_u32 v23, null, 0xcc, v132
	v_fma_f32 v42, -0.5, v1, v42
	v_sub_f32_e32 v1, v3, v7
	v_add_f32_e32 v3, v43, v3
	v_fmac_f32_e32 v43, -0.5, v0
	v_sub_f32_e32 v0, v2, v6
	v_add_f32_e32 v2, v46, v44
	v_fmamk_f32 v40, v1, 0x3f5db3d7, v42
	v_fmac_f32_e32 v42, 0xbf5db3d7, v1
	v_add_f32_e32 v1, v46, v16
	v_fmamk_f32 v41, v0, 0xbf5db3d7, v43
	v_fmac_f32_e32 v43, 0x3f5db3d7, v0
	v_add_f32_e32 v0, v47, v17
	v_add_f32_e32 v55, v3, v7
	v_fmac_f32_e32 v44, -0.5, v1
	v_sub_f32_e32 v1, v47, v17
	v_add_f32_e32 v3, v47, v45
	v_fmac_f32_e32 v45, -0.5, v0
	v_sub_f32_e32 v0, v46, v16
	v_add_f32_e32 v60, v16, v2
	v_fmamk_f32 v62, v1, 0x3f5db3d7, v44
	v_fmac_f32_e32 v44, 0xbf5db3d7, v1
	v_mul_lo_u16 v1, v132, 3
	v_fmamk_f32 v63, v0, 0xbf5db3d7, v45
	v_mov_b32_e32 v2, 3
	v_fmac_f32_e32 v45, 0x3f5db3d7, v0
	v_mul_u32_u24_e32 v0, 3, v18
	v_fmamk_f32 v34, v21, 0x3f5db3d7, v48
	v_fmac_f32_e32 v48, 0xbf5db3d7, v21
	v_lshlrev_b32_sdwa v236, v2, v1 dst_sel:DWORD dst_unused:UNUSED_PAD src0_sel:DWORD src1_sel:WORD_0
	v_mul_u32_u24_e32 v1, 3, v19
	v_lshlrev_b32_e32 v238, 3, v0
	v_mul_u32_u24_e32 v0, 3, v20
	v_add_f32_e32 v37, v12, v11
	v_fmamk_f32 v58, v9, 0x3f5db3d7, v52
	v_fmac_f32_e32 v52, 0xbf5db3d7, v9
	v_add_f32_e32 v54, v4, v6
	v_add_f32_e32 v61, v17, v3
	v_lshlrev_b32_e32 v240, 3, v1
	v_lshlrev_b32_e32 v237, 3, v0
	v_mul_u32_u24_e32 v239, 3, v23
	s_barrier
	buffer_gl0_inv
	ds_write2_b64 v236, v[32:33], v[34:35] offset1:1
	ds_write_b64 v236, v[48:49] offset:16
	ds_write2_b64 v238, v[36:37], v[64:65] offset1:1
	ds_write_b64 v238, v[38:39] offset:16
	;; [unrolled: 2-line block ×4, first 2 shown]
	s_and_saveexec_b32 s0, vcc_lo
	s_cbranch_execz .LBB0_7
; %bb.6:
	v_lshlrev_b32_e32 v0, 3, v239
	ds_write2_b64 v0, v[60:61], v[62:63] offset1:1
	ds_write_b64 v0, v[44:45] offset:16
.LBB0_7:
	s_or_b32 exec_lo, exec_lo, s0
	v_cmp_gt_u16_e64 s0, 42, v132
	s_waitcnt lgkmcnt(0)
	s_barrier
	buffer_gl0_inv
                                        ; implicit-def: $vgpr66
	s_and_saveexec_b32 s1, s0
	s_cbranch_execz .LBB0_9
; %bb.8:
	v_add_nc_u32_e32 v0, 0x800, v131
	v_add_nc_u32_e32 v1, 0x400, v131
	;; [unrolled: 1-line block ×3, first 2 shown]
	ds_read2_b64 v[36:39], v131 offset0:168 offset1:210
	ds_read2_b64 v[48:51], v131 offset0:84 offset1:126
	;; [unrolled: 1-line block ×4, first 2 shown]
	v_add_nc_u32_e32 v0, 0xc00, v131
	ds_read2_b64 v[32:35], v131 offset1:42
	ds_read_b64 v[66:67], v131 offset:5376
	ds_read2_b64 v[56:59], v1 offset0:124 offset1:166
	ds_read2_b64 v[60:63], v0 offset0:120 offset1:162
	;; [unrolled: 1-line block ×3, first 2 shown]
	s_waitcnt lgkmcnt(8)
	v_mov_b32_e32 v64, v36
	v_mov_b32_e32 v65, v37
	s_waitcnt lgkmcnt(7)
	v_mov_b32_e32 v36, v50
	v_mov_b32_e32 v37, v51
.LBB0_9:
	s_or_b32 exec_lo, exec_lo, s1
	v_and_b32_e32 v0, 0xff, v132
	v_mul_lo_u16 v0, 0xab, v0
	v_lshrrev_b16 v235, 9, v0
	v_mul_lo_u16 v0, v235, 3
	v_sub_nc_u16 v0, v132, v0
	v_and_b32_e32 v234, 0xff, v0
	v_lshlrev_b32_e32 v4, 7, v234
	s_clause 0x7
	global_load_dwordx4 v[16:19], v4, s[2:3]
	global_load_dwordx4 v[8:11], v4, s[2:3] offset:32
	global_load_dwordx4 v[0:3], v4, s[2:3] offset:48
	;; [unrolled: 1-line block ×7, first 2 shown]
	s_waitcnt vmcnt(0) lgkmcnt(0)
	s_barrier
	buffer_gl0_inv
	v_mul_f32_e32 v121, v35, v17
	v_mul_f32_e32 v166, v34, v17
	v_mul_f32_e32 v109, v49, v19
	v_mul_f32_e32 v76, v48, v19
	v_mul_f32_e32 v70, v58, v1
	v_mul_f32_e32 v50, v66, v31
	v_mul_f32_e32 v129, v67, v31
	v_mul_f32_e32 v125, v47, v29
	v_mul_f32_e32 v51, v46, v29
	v_fmac_f32_e32 v166, v35, v16
	v_fmac_f32_e32 v50, v67, v30
	v_fma_f32 v181, v34, v16, -v121
	v_fma_f32 v177, v66, v30, -v129
	v_mul_f32_e32 v71, v62, v21
	v_mul_f32_e32 v124, v45, v23
	;; [unrolled: 1-line block ×5, first 2 shown]
	v_fma_f32 v120, v48, v18, -v109
	v_fmac_f32_e32 v76, v49, v18
	v_fma_f32 v118, v46, v28, -v125
	v_fmac_f32_e32 v51, v47, v28
	v_sub_f32_e32 v183, v166, v50
	v_sub_f32_e32 v185, v181, v177
	v_mul_f32_e32 v111, v57, v11
	v_mul_f32_e32 v112, v59, v1
	;; [unrolled: 1-line block ×6, first 2 shown]
	v_fmac_f32_e32 v70, v59, v0
	v_fmac_f32_e32 v71, v63, v20
	v_fma_f32 v119, v44, v22, -v124
	v_fmac_f32_e32 v73, v45, v22
	v_fma_f32 v45, v36, v24, -v126
	v_fmac_f32_e32 v117, v37, v24
	v_add_f32_e32 v182, v181, v177
	v_sub_f32_e32 v59, v76, v51
	v_add_f32_e32 v184, v166, v50
	v_sub_f32_e32 v63, v120, v118
	v_mul_f32_e32 v186, 0xbeb8f4ab, v183
	v_mul_f32_e32 v187, 0xbeb8f4ab, v185
	;; [unrolled: 1-line block ×12, first 2 shown]
	v_fma_f32 v49, v56, v10, -v111
	v_fma_f32 v169, v62, v20, -v123
	;; [unrolled: 1-line block ×3, first 2 shown]
	v_fmac_f32_e32 v116, v65, v26
	v_fma_f32 v178, v40, v6, -v130
	v_add_f32_e32 v37, v120, v118
	v_add_f32_e32 v40, v76, v51
	v_sub_f32_e32 v62, v117, v73
	v_sub_f32_e32 v67, v45, v119
	v_mul_f32_e32 v158, 0xbf2c7751, v59
	v_mul_f32_e32 v160, 0xbf2c7751, v63
	v_mul_f32_e32 v136, 0xbf7ee86f, v59
	v_mul_f32_e32 v173, 0xbf7ee86f, v63
	v_mul_f32_e32 v161, 0xbf4c4adb, v59
	v_mul_f32_e32 v153, 0xbf4c4adb, v63
	v_fmamk_f32 v109, v182, 0x3f6eb680, v186
	v_fma_f32 v111, 0x3f6eb680, v184, -v187
	v_fmamk_f32 v202, v182, 0x3f3d2fb0, v188
	v_fma_f32 v204, 0x3f3d2fb0, v184, -v189
	;; [unrolled: 2-line block ×3, first 2 shown]
	v_mul_f32_e32 v74, v56, v11
	v_mul_f32_e32 v113, v53, v3
	;; [unrolled: 1-line block ×3, first 2 shown]
	v_fma_f32 v48, v38, v8, -v110
	v_fmac_f32_e32 v75, v39, v8
	v_fma_f32 v56, v58, v0, -v112
	v_fmac_f32_e32 v68, v43, v12
	;; [unrolled: 2-line block ×3, first 2 shown]
	v_fmac_f32_e32 v115, v41, v6
	v_add_f32_e32 v41, v45, v119
	v_add_f32_e32 v46, v117, v73
	v_sub_f32_e32 v66, v116, v71
	v_sub_f32_e32 v123, v44, v169
	v_mul_f32_e32 v156, 0xbf65296c, v62
	v_mul_f32_e32 v159, 0xbf65296c, v67
	;; [unrolled: 1-line block ×6, first 2 shown]
	v_fmamk_f32 v110, v37, 0x3f3d2fb0, v158
	v_fma_f32 v112, 0x3f3d2fb0, v40, -v160
	v_fmamk_f32 v203, v37, 0x3dbcf732, v136
	v_fma_f32 v205, 0x3dbcf732, v40, -v173
	;; [unrolled: 2-line block ×3, first 2 shown]
	v_add_f32_e32 v109, v32, v109
	v_add_f32_e32 v111, v33, v111
	;; [unrolled: 1-line block ×6, first 2 shown]
	v_mul_f32_e32 v69, v52, v3
	v_mul_f32_e32 v77, v54, v5
	v_fmac_f32_e32 v74, v57, v10
	v_fma_f32 v38, v52, v2, -v113
	v_fma_f32 v39, v42, v12, -v114
	v_add_f32_e32 v47, v44, v169
	v_add_f32_e32 v52, v116, v71
	v_sub_f32_e32 v122, v75, v72
	v_sub_f32_e32 v126, v48, v43
	v_mul_f32_e32 v154, 0xbf7ee86f, v66
	v_mul_f32_e32 v157, 0xbf7ee86f, v123
	;; [unrolled: 1-line block ×6, first 2 shown]
	v_fmamk_f32 v113, v41, 0x3ee437d1, v156
	v_fma_f32 v114, 0x3ee437d1, v46, -v159
	v_fmamk_f32 v206, v41, 0xbf1a4643, v138
	v_fma_f32 v207, 0xbf1a4643, v46, -v174
	;; [unrolled: 2-line block ×3, first 2 shown]
	v_add_f32_e32 v109, v110, v109
	v_add_f32_e32 v110, v112, v111
	;; [unrolled: 1-line block ×6, first 2 shown]
	v_mul_f32_e32 v128, v55, v5
	v_fmac_f32_e32 v69, v53, v2
	v_fmac_f32_e32 v77, v55, v4
	v_add_f32_e32 v53, v48, v43
	v_add_f32_e32 v55, v75, v72
	v_sub_f32_e32 v125, v74, v68
	v_sub_f32_e32 v127, v49, v39
	v_mul_f32_e32 v150, 0xbf763a35, v122
	v_mul_f32_e32 v155, 0xbf763a35, v126
	;; [unrolled: 1-line block ×6, first 2 shown]
	v_fmamk_f32 v192, v47, 0x3dbcf732, v154
	v_fma_f32 v193, 0x3dbcf732, v52, -v157
	v_fmamk_f32 v208, v47, 0xbf7ba420, v137
	v_fma_f32 v209, 0xbf7ba420, v52, -v176
	;; [unrolled: 2-line block ×3, first 2 shown]
	v_add_f32_e32 v109, v113, v109
	v_add_f32_e32 v110, v114, v110
	;; [unrolled: 1-line block ×6, first 2 shown]
	v_fma_f32 v36, v54, v4, -v128
	v_add_f32_e32 v54, v49, v39
	v_add_f32_e32 v57, v74, v68
	v_sub_f32_e32 v124, v70, v115
	v_sub_f32_e32 v128, v56, v178
	v_mul_f32_e32 v148, 0xbf4c4adb, v125
	v_mul_f32_e32 v151, 0xbf4c4adb, v127
	;; [unrolled: 1-line block ×6, first 2 shown]
	v_fmamk_f32 v194, v53, 0xbe8c1d8e, v150
	v_fma_f32 v195, 0xbe8c1d8e, v55, -v155
	v_fmamk_f32 v210, v53, 0xbf59a7d5, v135
	v_fma_f32 v211, 0xbf59a7d5, v55, -v175
	;; [unrolled: 2-line block ×3, first 2 shown]
	v_add_f32_e32 v109, v192, v109
	v_add_f32_e32 v110, v193, v110
	;; [unrolled: 1-line block ×8, first 2 shown]
	v_sub_f32_e32 v65, v69, v77
	v_sub_f32_e32 v121, v38, v36
	v_mul_f32_e32 v146, 0xbf06c442, v124
	v_mul_f32_e32 v149, 0xbf06c442, v128
	;; [unrolled: 1-line block ×6, first 2 shown]
	v_fmamk_f32 v196, v54, 0xbf1a4643, v148
	v_fma_f32 v197, 0xbf1a4643, v57, -v151
	v_fmamk_f32 v212, v54, 0xbe8c1d8e, v179
	v_fma_f32 v213, 0xbe8c1d8e, v57, -v140
	;; [unrolled: 2-line block ×3, first 2 shown]
	v_add_f32_e32 v109, v194, v109
	v_add_f32_e32 v110, v195, v110
	;; [unrolled: 1-line block ×8, first 2 shown]
	v_mul_f32_e32 v145, 0xbe3c28d5, v65
	v_mul_f32_e32 v147, 0xbe3c28d5, v121
	;; [unrolled: 1-line block ×6, first 2 shown]
	v_fmamk_f32 v198, v58, 0xbf59a7d5, v146
	v_fma_f32 v199, 0xbf59a7d5, v60, -v149
	v_fmamk_f32 v214, v58, 0x3ee437d1, v130
	v_fma_f32 v215, 0x3ee437d1, v60, -v139
	;; [unrolled: 2-line block ×3, first 2 shown]
	v_add_f32_e32 v109, v196, v109
	v_add_f32_e32 v110, v197, v110
	;; [unrolled: 1-line block ×6, first 2 shown]
	v_fmamk_f32 v200, v61, 0xbf7ba420, v145
	v_fma_f32 v201, 0xbf7ba420, v64, -v147
	v_fmamk_f32 v216, v61, 0x3f6eb680, v129
	v_fma_f32 v217, 0x3f6eb680, v64, -v180
	;; [unrolled: 2-line block ×3, first 2 shown]
	v_add_f32_e32 v109, v198, v109
	v_add_f32_e32 v110, v199, v110
	;; [unrolled: 1-line block ×12, first 2 shown]
	s_and_saveexec_b32 s1, s0
	s_cbranch_execz .LBB0_11
; %bb.10:
	v_mul_f32_e32 v192, 0x3ee437d1, v184
	v_mul_f32_e32 v194, 0xbf59a7d5, v184
	v_mul_f32_e32 v196, 0xbf1a4643, v184
	v_mul_f32_e32 v198, 0xbe8c1d8e, v184
	v_mul_f32_e32 v202, 0xbf06c442, v183
	v_add_f32_e32 v191, v191, v192
	v_mul_f32_e32 v192, 0x3ee437d1, v182
	v_fmamk_f32 v195, v185, 0x3f06c442, v194
	v_fmac_f32_e32 v194, 0xbf06c442, v185
	v_fmamk_f32 v197, v185, 0x3f4c4adb, v196
	v_fmac_f32_e32 v196, 0xbf4c4adb, v185
	v_sub_f32_e32 v190, v192, v190
	v_mul_f32_e32 v192, 0x3f3d2fb0, v184
	v_fmamk_f32 v199, v185, 0x3f763a35, v198
	v_fmac_f32_e32 v198, 0xbf763a35, v185
	v_mul_f32_e32 v204, 0xbf4c4adb, v183
	v_mul_f32_e32 v205, 0xbf763a35, v183
	v_add_f32_e32 v189, v189, v192
	v_mul_f32_e32 v192, 0x3f3d2fb0, v182
	v_fmamk_f32 v203, v182, 0xbf59a7d5, v202
	v_fma_f32 v202, 0xbf59a7d5, v182, -v202
	v_fmamk_f32 v206, v182, 0xbf1a4643, v204
	v_fma_f32 v204, 0xbf1a4643, v182, -v204
	v_sub_f32_e32 v188, v192, v188
	v_mul_f32_e32 v192, 0x3f6eb680, v184
	v_fmamk_f32 v207, v182, 0xbe8c1d8e, v205
	v_fma_f32 v205, 0xbe8c1d8e, v182, -v205
	v_add_f32_e32 v206, v32, v206
	v_add_f32_e32 v203, v32, v203
	;; [unrolled: 1-line block ×3, first 2 shown]
	v_mul_f32_e32 v192, 0x3f6eb680, v182
	v_add_f32_e32 v202, v32, v202
	v_add_f32_e32 v204, v32, v204
	;; [unrolled: 1-line block ×4, first 2 shown]
	v_sub_f32_e32 v186, v192, v186
	v_mul_f32_e32 v192, 0xbf7ba420, v184
	buffer_store_dword v43, off, s[16:19], 0 ; 4-byte Folded Spill
	buffer_store_dword v44, off, s[16:19], 0 offset:12 ; 4-byte Folded Spill
	buffer_store_dword v120, off, s[16:19], 0 offset:16 ; 4-byte Folded Spill
	v_add_f32_e32 v120, v32, v188
	v_add_f32_e32 v44, v33, v166
	;; [unrolled: 1-line block ×3, first 2 shown]
	v_fmamk_f32 v193, v185, 0x3e3c28d5, v192
	v_fmac_f32_e32 v192, 0xbe3c28d5, v185
	v_mul_f32_e32 v185, 0xbf7ee86f, v185
	v_add_f32_e32 v43, v32, v181
	v_mul_f32_e32 v166, 0xbf59a7d5, v40
	v_add_f32_e32 v197, v33, v197
	v_add_f32_e32 v195, v33, v195
	v_fmamk_f32 v200, v184, 0x3dbcf732, v185
	v_fma_f32 v184, 0x3dbcf732, v184, -v185
	v_mul_f32_e32 v185, 0xbe3c28d5, v183
	v_mul_f32_e32 v183, 0xbf7ee86f, v183
	v_add_f32_e32 v193, v33, v193
	v_add_f32_e32 v192, v33, v192
	;; [unrolled: 1-line block ×3, first 2 shown]
	v_fmamk_f32 v201, v182, 0xbf7ba420, v185
	v_fma_f32 v185, 0xbf7ba420, v182, -v185
	v_fma_f32 v208, 0x3dbcf732, v182, -v183
	v_fmac_f32_e32 v183, 0x3dbcf732, v182
	v_add_f32_e32 v182, v33, v199
	v_add_f32_e32 v199, v32, v207
	v_add_f32_e32 v201, v32, v201
	v_add_f32_e32 v207, v32, v185
	v_add_f32_e32 v214, v32, v208
	v_add_f32_e32 v32, v32, v183
	v_add_f32_e32 v196, v33, v196
	v_add_f32_e32 v198, v33, v198
	v_add_f32_e32 v200, v33, v200
	v_add_f32_e32 v209, v33, v191
	v_add_f32_e32 v218, v33, v189
	v_add_f32_e32 v213, v33, v187
	v_add_f32_e32 v33, v33, v184
	buffer_store_dword v32, off, s[16:19], 0 offset:8 ; 4-byte Folded Spill
	v_fmamk_f32 v32, v63, 0xbf06c442, v166
	v_mul_f32_e32 v219, 0x3f3d2fb0, v46
	v_mul_f32_e32 v220, 0x3ee437d1, v52
	buffer_store_dword v33, off, s[16:19], 0 offset:4 ; 4-byte Folded Spill
	v_mul_f32_e32 v221, 0xbf7ba420, v55
	v_add_f32_e32 v32, v32, v182
	v_fmamk_f32 v33, v67, 0xbf2c7751, v219
	v_mul_f32_e32 v222, 0x3f06c442, v59
	v_mul_f32_e32 v223, 0x3f2c7751, v62
	v_mul_f32_e32 v224, 0x3f6eb680, v60
	v_mul_f32_e32 v225, 0xbf65296c, v66
	v_add_f32_e32 v32, v33, v32
	v_fmamk_f32 v33, v123, 0x3f65296c, v220
	v_mul_f32_e32 v226, 0xbe3c28d5, v122
	v_mul_f32_e32 v227, 0x3f7ee86f, v125
	v_mul_f32_e32 v228, 0xbeb8f4ab, v124
	;; [unrolled: 6-line block ×3, first 2 shown]
	v_mul_f32_e32 v232, 0x3dbcf732, v55
	v_add_f32_e32 v32, v33, v32
	v_fmamk_f32 v33, v37, 0xbf59a7d5, v222
	v_mul_f32_e32 v233, 0x3f763a35, v59
	v_mov_b32_e32 v216, v129
	v_mov_b32_e32 v129, v234
	v_mul_f32_e32 v234, 0xbeb8f4ab, v62
	v_add_f32_e32 v33, v33, v199
	v_mul_f32_e32 v199, 0x3dbcf732, v57
	v_mov_b32_e32 v211, v130
	v_mov_b32_e32 v130, v235
	v_mul_f32_e32 v235, 0xbf7ba420, v60
	buffer_store_dword v43, off, s[16:19], 0 offset:20 ; 4-byte Folded Spill
	v_fmamk_f32 v181, v127, 0xbf7ee86f, v199
	v_mov_b32_e32 v43, v140
	v_mov_b32_e32 v140, v236
	v_mul_f32_e32 v236, 0xbf06c442, v66
	v_mov_b32_e32 v141, v237
	v_add_f32_e32 v32, v181, v32
	v_fmamk_f32 v181, v41, 0x3f3d2fb0, v223
	v_mul_f32_e32 v237, 0x3f7ee86f, v122
	v_mov_b32_e32 v142, v238
	v_mul_f32_e32 v238, 0xbf2c7751, v125
	v_mov_b32_e32 v143, v239
	v_add_f32_e32 v33, v181, v33
	v_fmamk_f32 v181, v128, 0x3eb8f4ab, v224
	v_mul_f32_e32 v239, 0xbe3c28d5, v124
	v_mov_b32_e32 v144, v240
	v_mul_f32_e32 v240, 0x3ee437d1, v64
	v_mov_b32_e32 v217, v39
	v_add_f32_e32 v32, v181, v32
	v_fmamk_f32 v181, v47, 0x3ee437d1, v225
	v_mov_b32_e32 v39, v56
	v_mov_b32_e32 v56, v152
	;; [unrolled: 1-line block ×3, first 2 shown]
	v_mul_f32_e32 v241, 0x3f65296c, v65
	v_add_f32_e32 v33, v181, v33
	v_fmamk_f32 v181, v53, 0xbf7ba420, v226
	v_mul_f32_e32 v189, 0x3ee437d1, v40
	v_mul_f32_e32 v190, 0x3dbcf732, v46
	;; [unrolled: 1-line block ×4, first 2 shown]
	v_add_f32_e32 v33, v181, v33
	v_fmamk_f32 v181, v54, 0x3dbcf732, v227
	v_fmamk_f32 v184, v67, 0x3f7ee86f, v190
	v_mul_f32_e32 v244, 0xbf7ee86f, v62
	v_mul_f32_e32 v245, 0x3f3d2fb0, v60
	v_mul_f32_e32 v246, 0x3f4c4adb, v66
	v_add_f32_e32 v33, v181, v33
	v_fmamk_f32 v181, v58, 0x3f6eb680, v228
	v_mul_f32_e32 v247, 0xbeb8f4ab, v122
	v_mul_f32_e32 v248, 0xbe3c28d5, v125
	v_mul_f32_e32 v249, 0x3f2c7751, v124
	v_mul_f32_e32 v250, 0xbe8c1d8e, v64
	v_add_f32_e32 v181, v181, v33
	v_fmamk_f32 v33, v121, 0x3f4c4adb, v229
	v_mul_f32_e32 v251, 0xbf763a35, v65
	v_mul_f32_e32 v187, 0x3f6eb680, v40
	v_mul_f32_e32 v188, 0xbf59a7d5, v46
	v_mul_f32_e32 v252, 0xbf1a4643, v55
	v_add_f32_e32 v33, v33, v32
	v_fmamk_f32 v32, v61, 0xbf1a4643, v230
	v_mul_f32_e32 v253, 0x3eb8f4ab, v59
	v_fmamk_f32 v186, v67, 0x3f06c442, v188
	v_mov_b32_e32 v35, v138
	v_mul_f32_e32 v133, 0x3f2c7751, v66
	v_add_f32_e32 v32, v32, v181
	v_fmamk_f32 v181, v63, 0xbf763a35, v191
	v_mul_f32_e32 v134, 0xbf4c4adb, v122
	v_mov_b32_e32 v208, v38
	v_mov_b32_e32 v38, v135
	v_mul_f32_e32 v135, 0x3f65296c, v125
	v_add_f32_e32 v181, v181, v197
	v_mul_f32_e32 v197, 0x3f6eb680, v46
	v_mov_b32_e32 v34, v132
	v_mov_b32_e32 v132, v45
	;; [unrolled: 1-line block ×3, first 2 shown]
	v_mul_f32_e32 v136, 0xbf763a35, v124
	v_fmamk_f32 v182, v67, 0x3eb8f4ab, v197
	buffer_store_dword v169, off, s[16:19], 0 offset:24 ; 4-byte Folded Spill
	v_mov_b32_e32 v169, v137
	v_mul_f32_e32 v137, 0x3dbcf732, v64
	v_mov_b32_e32 v212, v36
	v_add_f32_e32 v181, v182, v181
	v_fmamk_f32 v182, v123, 0x3f06c442, v231
	v_mov_b32_e32 v36, v139
	v_fmac_f32_e32 v188, 0xbf06c442, v67
	v_fmac_f32_e32 v190, 0xbf7ee86f, v67
	;; [unrolled: 1-line block ×3, first 2 shown]
	v_add_f32_e32 v181, v182, v181
	v_fmamk_f32 v182, v126, 0xbf7ee86f, v232
	v_fmac_f32_e32 v197, 0xbeb8f4ab, v67
	v_fmac_f32_e32 v231, 0xbf06c442, v123
	;; [unrolled: 1-line block ×4, first 2 shown]
	v_add_f32_e32 v181, v182, v181
	v_fmamk_f32 v182, v37, 0xbe8c1d8e, v233
	v_fmac_f32_e32 v219, 0x3f2c7751, v67
	v_fmac_f32_e32 v220, 0xbf65296c, v123
	;; [unrolled: 1-line block ×4, first 2 shown]
	v_add_f32_e32 v182, v182, v206
	v_mul_f32_e32 v206, 0x3f3d2fb0, v57
	v_fmac_f32_e32 v224, 0xbeb8f4ab, v128
	v_fmac_f32_e32 v229, 0xbf4c4adb, v121
	v_add_f32_e32 v76, v44, v76
	v_mul_f32_e32 v67, 0x3f763a35, v67
	v_fmamk_f32 v183, v127, 0x3f2c7751, v206
	v_fmac_f32_e32 v206, 0xbf2c7751, v127
	v_mul_f32_e32 v59, 0xbe3c28d5, v59
	v_add_f32_e32 v76, v76, v117
	v_mul_f32_e32 v66, 0x3eb8f4ab, v66
	v_add_f32_e32 v181, v183, v181
	v_fmamk_f32 v183, v41, 0x3f6eb680, v234
	v_mul_f32_e32 v122, 0xbf65296c, v122
	v_add_f32_e32 v76, v76, v116
	v_mul_f32_e32 v125, 0xbf06c442, v125
	v_mul_f32_e32 v116, 0xbe8c1d8e, v57
	v_add_f32_e32 v182, v183, v182
	v_fmamk_f32 v183, v128, 0x3e3c28d5, v235
	v_fmac_f32_e32 v235, 0xbe3c28d5, v128
	v_add_f32_e32 v75, v76, v75
	v_add_f32_e32 v116, v43, v116
	;; [unrolled: 1-line block ×3, first 2 shown]
	v_fmamk_f32 v183, v47, 0xbf59a7d5, v236
	v_add_f32_e32 v74, v75, v74
	v_mul_f32_e32 v75, 0x3ee437d1, v60
	v_add_f32_e32 v182, v183, v182
	v_fmamk_f32 v183, v53, 0x3dbcf732, v237
	v_add_f32_e32 v75, v36, v75
	v_add_f32_e32 v70, v74, v70
	v_mul_f32_e32 v74, 0xbe8c1d8e, v54
	v_add_f32_e32 v182, v183, v182
	v_fmamk_f32 v183, v54, 0x3f3d2fb0, v238
	v_add_f32_e32 v69, v70, v69
	v_sub_f32_e32 v74, v74, v179
	v_add_f32_e32 v182, v183, v182
	v_fmamk_f32 v183, v58, 0xbf7ba420, v239
	v_add_f32_e32 v69, v69, v77
	v_add_f32_e32 v183, v183, v182
	v_fmamk_f32 v182, v121, 0xbf65296c, v240
	v_fmac_f32_e32 v240, 0x3f65296c, v121
	v_add_f32_e32 v69, v69, v115
	v_add_f32_e32 v182, v182, v181
	v_fmamk_f32 v181, v61, 0x3ee437d1, v241
	v_add_f32_e32 v181, v181, v183
	v_fmamk_f32 v183, v63, 0xbf65296c, v189
	v_fmac_f32_e32 v189, 0x3f65296c, v63
	v_add_f32_e32 v183, v183, v195
	v_mul_f32_e32 v195, 0xbf1a4643, v52
	v_add_f32_e32 v183, v184, v183
	v_fmamk_f32 v184, v123, 0xbf4c4adb, v195
	v_fmac_f32_e32 v195, 0x3f4c4adb, v123
	v_add_f32_e32 v183, v184, v183
	v_fmamk_f32 v184, v126, 0x3eb8f4ab, v242
	v_fmac_f32_e32 v242, 0xbeb8f4ab, v126
	v_add_f32_e32 v183, v184, v183
	v_fmamk_f32 v184, v37, 0x3ee437d1, v243
	v_add_f32_e32 v184, v184, v203
	v_mul_f32_e32 v203, 0xbf7ba420, v57
	v_fmamk_f32 v185, v127, 0x3e3c28d5, v203
	v_fmac_f32_e32 v203, 0xbe3c28d5, v127
	v_add_f32_e32 v183, v185, v183
	v_fmamk_f32 v185, v41, 0x3dbcf732, v244
	v_add_f32_e32 v184, v185, v184
	v_fmamk_f32 v185, v128, 0xbf2c7751, v245
	v_fmac_f32_e32 v245, 0x3f2c7751, v128
	v_add_f32_e32 v183, v185, v183
	v_fmamk_f32 v185, v47, 0xbf1a4643, v246
	v_add_f32_e32 v184, v185, v184
	v_fmamk_f32 v185, v53, 0x3f6eb680, v247
	;; [unrolled: 2-line block ×5, first 2 shown]
	v_fmac_f32_e32 v250, 0xbf763a35, v121
	v_add_f32_e32 v184, v184, v183
	v_fmamk_f32 v183, v61, 0xbe8c1d8e, v251
	v_add_f32_e32 v183, v183, v185
	v_fmamk_f32 v185, v63, 0xbeb8f4ab, v187
	v_fmac_f32_e32 v187, 0x3eb8f4ab, v63
	v_mul_f32_e32 v63, 0xbe3c28d5, v63
	v_add_f32_e32 v185, v185, v193
	v_mul_f32_e32 v193, 0x3f3d2fb0, v52
	v_add_f32_e32 v185, v186, v185
	v_fmamk_f32 v186, v123, 0xbf2c7751, v193
	v_fmac_f32_e32 v193, 0x3f2c7751, v123
	v_mul_f32_e32 v123, 0x3eb8f4ab, v123
	v_add_f32_e32 v185, v186, v185
	v_fmamk_f32 v186, v126, 0x3f4c4adb, v252
	v_fmac_f32_e32 v252, 0xbf4c4adb, v126
	v_mul_f32_e32 v126, 0xbf65296c, v126
	v_add_f32_e32 v185, v186, v185
	v_fmamk_f32 v186, v37, 0x3f6eb680, v253
	v_add_f32_e32 v186, v186, v201
	v_mul_f32_e32 v201, 0x3ee437d1, v57
	v_fmamk_f32 v254, v127, 0xbf65296c, v201
	v_fmac_f32_e32 v201, 0x3f65296c, v127
	v_mul_f32_e32 v127, 0xbf06c442, v127
	v_add_f32_e32 v185, v254, v185
	v_mul_f32_e32 v254, 0xbf06c442, v62
	v_mul_f32_e32 v62, 0x3f763a35, v62
	v_fmamk_f32 v255, v41, 0xbf59a7d5, v254
	v_add_f32_e32 v186, v255, v186
	v_mul_f32_e32 v255, 0xbe8c1d8e, v60
	v_fmamk_f32 v138, v128, 0x3f763a35, v255
	v_fmac_f32_e32 v255, 0xbf763a35, v128
	v_mul_f32_e32 v128, 0x3f4c4adb, v128
	v_add_f32_e32 v138, v138, v185
	v_fmamk_f32 v185, v47, 0x3f3d2fb0, v133
	v_fma_f32 v133, 0x3f3d2fb0, v47, -v133
	v_add_f32_e32 v185, v185, v186
	v_fmamk_f32 v186, v53, 0xbf1a4643, v134
	v_fma_f32 v134, 0xbf1a4643, v53, -v134
	v_add_f32_e32 v185, v186, v185
	v_fmamk_f32 v186, v54, 0x3ee437d1, v135
	v_add_f32_e32 v185, v186, v185
	v_fmamk_f32 v186, v58, 0xbe8c1d8e, v136
	;; [unrolled: 2-line block ×3, first 2 shown]
	v_fmac_f32_e32 v137, 0x3f7ee86f, v121
	v_add_f32_e32 v186, v186, v138
	v_mul_f32_e32 v138, 0x3f7ee86f, v65
	v_fmamk_f32 v139, v61, 0x3dbcf732, v138
	v_add_f32_e32 v185, v139, v185
	v_add_f32_e32 v139, v187, v192
	v_fma_f32 v187, 0x3f6eb680, v37, -v253
	v_add_f32_e32 v139, v188, v139
	v_add_f32_e32 v187, v187, v207
	v_fma_f32 v188, 0xbf59a7d5, v41, -v254
	v_add_f32_e32 v139, v193, v139
	v_add_f32_e32 v187, v188, v187
	;; [unrolled: 1-line block ×6, first 2 shown]
	v_fma_f32 v134, 0x3ee437d1, v54, -v135
	v_fma_f32 v135, 0x3dbcf732, v41, -v244
	v_add_f32_e32 v139, v255, v139
	v_add_f32_e32 v133, v134, v133
	v_fma_f32 v134, 0xbe8c1d8e, v58, -v136
	v_mul_f32_e32 v136, 0x3f6eb680, v57
	v_add_f32_e32 v188, v137, v139
	v_mul_f32_e32 v137, 0x3dbcf732, v37
	v_add_f32_e32 v133, v134, v133
	v_fma_f32 v134, 0x3dbcf732, v61, -v138
	v_add_f32_e32 v136, v171, v136
	v_mul_f32_e32 v138, 0xbf1a4643, v41
	v_sub_f32_e32 v137, v137, v45
	v_add_f32_e32 v187, v134, v133
	v_fma_f32 v134, 0x3ee437d1, v37, -v243
	v_add_f32_e32 v133, v189, v194
	v_sub_f32_e32 v138, v138, v35
	v_add_f32_e32 v137, v137, v120
	v_mul_f32_e32 v120, 0xbf7ba420, v47
	v_add_f32_e32 v134, v134, v202
	v_add_f32_e32 v133, v190, v133
	;; [unrolled: 1-line block ×3, first 2 shown]
	v_sub_f32_e32 v120, v120, v169
	v_add_f32_e32 v134, v135, v134
	v_fma_f32 v135, 0xbf1a4643, v47, -v246
	v_add_f32_e32 v133, v195, v133
	v_add_f32_e32 v134, v135, v134
	v_fma_f32 v135, 0x3f6eb680, v53, -v247
	v_add_f32_e32 v133, v242, v133
	;; [unrolled: 3-line block ×5, first 2 shown]
	v_add_f32_e32 v133, v191, v196
	v_add_f32_e32 v189, v135, v134
	v_fma_f32 v134, 0xbe8c1d8e, v37, -v233
	v_fma_f32 v135, 0x3f6eb680, v41, -v234
	v_add_f32_e32 v133, v197, v133
	v_mov_b32_e32 v234, v129
	v_add_f32_e32 v134, v134, v204
	v_add_f32_e32 v133, v231, v133
	;; [unrolled: 1-line block ×3, first 2 shown]
	v_fma_f32 v135, 0xbf59a7d5, v47, -v236
	v_add_f32_e32 v133, v232, v133
	v_mov_b32_e32 v236, v140
	v_add_f32_e32 v134, v135, v134
	v_fma_f32 v135, 0x3dbcf732, v53, -v237
	v_add_f32_e32 v133, v206, v133
	v_mov_b32_e32 v237, v141
	v_add_f32_e32 v134, v135, v134
	v_fma_f32 v135, 0x3f3d2fb0, v54, -v238
	v_add_f32_e32 v133, v235, v133
	v_mov_b32_e32 v235, v130
	v_mov_b32_e32 v238, v142
	v_add_f32_e32 v134, v135, v134
	v_fma_f32 v135, 0xbf7ba420, v58, -v239
	v_add_f32_e32 v192, v240, v133
	v_add_f32_e32 v133, v166, v198
	v_mov_b32_e32 v239, v143
	v_mov_b32_e32 v240, v144
	v_add_f32_e32 v134, v135, v134
	v_fma_f32 v135, 0x3ee437d1, v61, -v241
	v_add_f32_e32 v133, v219, v133
	v_mov_b32_e32 v241, v152
	v_add_f32_e32 v191, v135, v134
	v_fma_f32 v134, 0xbf59a7d5, v37, -v222
	v_fma_f32 v135, 0x3f3d2fb0, v41, -v223
	v_add_f32_e32 v133, v220, v133
	v_add_f32_e32 v134, v134, v205
	;; [unrolled: 1-line block ×4, first 2 shown]
	v_fma_f32 v135, 0x3ee437d1, v47, -v225
	v_add_f32_e32 v133, v199, v133
	v_add_f32_e32 v134, v135, v134
	v_fma_f32 v135, 0xbf7ba420, v53, -v226
	v_add_f32_e32 v133, v224, v133
	v_add_f32_e32 v134, v135, v134
	v_fma_f32 v135, 0x3dbcf732, v54, -v227
	v_add_f32_e32 v194, v229, v133
	v_mul_f32_e32 v133, 0xbf1a4643, v40
	v_add_f32_e32 v134, v135, v134
	v_fma_f32 v135, 0x3f6eb680, v58, -v228
	v_add_f32_e32 v133, v153, v133
	v_add_f32_e32 v134, v135, v134
	v_fma_f32 v135, 0xbf1a4643, v61, -v230
	v_add_f32_e32 v133, v133, v209
	v_add_f32_e32 v193, v135, v134
	v_mul_f32_e32 v134, 0xbf7ba420, v46
	v_mul_f32_e32 v135, 0xbf1a4643, v37
	v_add_f32_e32 v134, v168, v134
	v_sub_f32_e32 v135, v135, v161
	v_add_f32_e32 v133, v134, v133
	v_mul_f32_e32 v134, 0xbe8c1d8e, v52
	v_add_f32_e32 v134, v170, v134
	v_add_f32_e32 v133, v134, v133
	v_mul_f32_e32 v134, 0x3f3d2fb0, v55
	v_add_f32_e32 v134, v172, v134
	v_add_f32_e32 v133, v134, v133
	;; [unrolled: 1-line block ×3, first 2 shown]
	v_mul_f32_e32 v135, 0xbf7ba420, v41
	v_add_f32_e32 v133, v136, v133
	v_mul_f32_e32 v136, 0x3dbcf732, v60
	v_sub_f32_e32 v135, v135, v162
	v_add_f32_e32 v136, v42, v136
	s_clause 0x1
	buffer_load_dword v35, off, s[16:19], 0 offset:16
	buffer_load_dword v42, off, s[16:19], 0 offset:20
	v_add_f32_e32 v134, v135, v134
	v_mul_f32_e32 v135, 0xbe8c1d8e, v47
	v_add_f32_e32 v133, v136, v133
	v_mul_f32_e32 v136, 0xbf59a7d5, v64
	v_sub_f32_e32 v135, v135, v163
	v_add_f32_e32 v136, v167, v136
	v_add_f32_e32 v134, v135, v134
	v_mul_f32_e32 v135, 0x3f3d2fb0, v53
	v_add_f32_e32 v167, v136, v133
	v_mul_f32_e32 v133, 0x3f3d2fb0, v40
	v_mul_f32_e32 v136, 0x3ee437d1, v41
	v_sub_f32_e32 v135, v135, v164
	v_add_f32_e32 v133, v160, v133
	v_sub_f32_e32 v136, v136, v156
	v_add_f32_e32 v134, v135, v134
	v_mul_f32_e32 v135, 0x3f6eb680, v54
	v_add_f32_e32 v133, v133, v213
	v_sub_f32_e32 v135, v135, v165
	v_add_f32_e32 v134, v135, v134
	v_mul_f32_e32 v135, 0x3dbcf732, v58
	v_sub_f32_e32 v135, v135, v88
	v_add_f32_e32 v134, v135, v134
	v_mul_f32_e32 v135, 0xbf59a7d5, v61
	v_sub_f32_e32 v135, v135, v56
	v_mul_f32_e32 v56, 0x3f4c4adb, v124
	v_add_f32_e32 v166, v135, v134
	v_mul_f32_e32 v134, 0x3f3d2fb0, v37
	v_mul_f32_e32 v135, 0x3ee437d1, v46
	v_fma_f32 v70, 0xbf1a4643, v58, -v56
	v_fmac_f32_e32 v56, 0xbf1a4643, v58
	v_sub_f32_e32 v134, v134, v158
	v_add_f32_e32 v135, v159, v135
	v_add_f32_e32 v134, v134, v215
	;; [unrolled: 1-line block ×3, first 2 shown]
	v_mul_f32_e32 v135, 0x3dbcf732, v52
	v_add_f32_e32 v134, v136, v134
	v_mul_f32_e32 v136, 0x3dbcf732, v47
	v_add_f32_e32 v135, v157, v135
	v_sub_f32_e32 v136, v136, v154
	v_add_f32_e32 v133, v135, v133
	v_mul_f32_e32 v135, 0xbe8c1d8e, v55
	v_add_f32_e32 v134, v136, v134
	v_mul_f32_e32 v136, 0xbe8c1d8e, v53
	v_add_f32_e32 v135, v155, v135
	v_sub_f32_e32 v136, v136, v150
	v_add_f32_e32 v133, v135, v133
	;; [unrolled: 6-line block ×5, first 2 shown]
	v_fmamk_f32 v133, v40, 0xbf7ba420, v63
	v_fmamk_f32 v135, v60, 0xbf1a4643, v128
	v_add_f32_e32 v152, v136, v134
	v_fmamk_f32 v134, v46, 0xbe8c1d8e, v67
	v_add_f32_e32 v133, v133, v200
	v_fma_f32 v136, 0xbf59a7d5, v54, -v125
	v_fmac_f32_e32 v125, 0xbf59a7d5, v54
	v_add_f32_e32 v133, v134, v133
	v_fmamk_f32 v134, v52, 0x3f6eb680, v123
	v_add_f32_e32 v133, v134, v133
	v_fmamk_f32 v134, v55, 0x3ee437d1, v126
	;; [unrolled: 2-line block ×3, first 2 shown]
	v_add_f32_e32 v133, v134, v133
	v_fma_f32 v134, 0xbf7ba420, v37, -v59
	v_fmac_f32_e32 v59, 0xbf7ba420, v37
	v_fma_f32 v37, 0xbe8c1d8e, v46, -v67
	v_add_f32_e32 v133, v135, v133
	v_add_f32_e32 v134, v134, v214
	v_fma_f32 v135, 0xbe8c1d8e, v41, -v62
	v_fmac_f32_e32 v62, 0xbe8c1d8e, v41
	v_add_f32_e32 v134, v135, v134
	v_fma_f32 v135, 0x3f6eb680, v47, -v66
	v_fmac_f32_e32 v66, 0x3f6eb680, v47
	v_mul_f32_e32 v47, 0x3f2c7751, v65
	v_add_f32_e32 v134, v135, v134
	v_fma_f32 v135, 0x3ee437d1, v53, -v122
	v_fmac_f32_e32 v122, 0x3ee437d1, v53
	v_add_f32_e32 v134, v135, v134
	v_mul_f32_e32 v135, 0x3dbcf732, v40
	v_add_f32_e32 v134, v136, v134
	v_add_f32_e32 v135, v173, v135
	v_mul_f32_e32 v136, 0xbf1a4643, v46
	v_add_f32_e32 v70, v70, v134
	v_add_f32_e32 v135, v135, v218
	;; [unrolled: 1-line block ×4, first 2 shown]
	v_mul_f32_e32 v136, 0xbf7ba420, v52
	v_add_f32_e32 v136, v176, v136
	v_add_f32_e32 v135, v136, v135
	v_mul_f32_e32 v136, 0xbf59a7d5, v55
	v_add_f32_e32 v136, v175, v136
	v_add_f32_e32 v135, v136, v135
	;; [unrolled: 1-line block ×4, first 2 shown]
	s_waitcnt vmcnt(0)
	v_add_f32_e32 v117, v42, v35
	v_mul_f32_e32 v42, 0x3f2c7751, v121
	v_add_f32_e32 v45, v117, v132
	v_mov_b32_e32 v132, v34
	buffer_load_dword v34, off, s[16:19], 0 offset:12 ; 4-byte Folded Reload
	v_add_f32_e32 v117, v120, v137
	s_waitcnt vmcnt(0)
	v_add_f32_e32 v44, v45, v34
	buffer_load_dword v34, off, s[16:19], 0 offset:4 ; 4-byte Folded Reload
	v_mul_f32_e32 v45, 0xbf59a7d5, v53
	v_add_f32_e32 v44, v44, v48
	v_sub_f32_e32 v45, v45, v38
	v_add_f32_e32 v44, v44, v49
	v_mul_f32_e32 v49, 0x3ee437d1, v58
	v_add_f32_e32 v45, v45, v117
	v_add_f32_e32 v44, v44, v39
	v_sub_f32_e32 v49, v49, v211
	v_add_f32_e32 v45, v74, v45
	v_add_f32_e32 v44, v44, v208
	;; [unrolled: 1-line block ×5, first 2 shown]
	v_mul_f32_e32 v44, 0x3f6eb680, v64
	v_add_f32_e32 v49, v49, v72
	v_add_f32_e32 v35, v36, v178
	v_fma_f32 v36, 0xbf7ba420, v40, -v63
	v_add_f32_e32 v44, v180, v44
	v_add_f32_e32 v46, v49, v71
	v_mul_f32_e32 v40, 0x3f6eb680, v61
	v_add_f32_e32 v35, v35, v217
	v_fma_f32 v49, 0x3f3d2fb0, v61, -v47
	v_fmac_f32_e32 v47, 0x3f3d2fb0, v61
	v_add_f32_e32 v41, v46, v73
	v_sub_f32_e32 v40, v40, v216
	v_add_f32_e32 v41, v41, v51
	v_add_f32_e32 v39, v41, v50
	v_mov_b32_e32 v41, 51
	s_waitcnt vmcnt(0)
	v_add_f32_e32 v36, v36, v34
	buffer_load_dword v34, off, s[16:19], 0 offset:8 ; 4-byte Folded Reload
	v_add_f32_e32 v36, v37, v36
	v_fma_f32 v37, 0x3f6eb680, v52, -v123
	v_add_f32_e32 v36, v37, v36
	v_fma_f32 v37, 0x3ee437d1, v55, -v126
	v_add_f32_e32 v36, v37, v36
	v_add_f32_e32 v37, v44, v75
	v_fma_f32 v44, 0xbf1a4643, v60, -v128
	s_waitcnt vmcnt(0)
	v_add_f32_e32 v48, v59, v34
	buffer_load_dword v34, off, s[16:19], 0 ; 4-byte Folded Reload
	v_add_f32_e32 v43, v62, v48
	v_fma_f32 v48, 0xbf59a7d5, v57, -v127
	v_add_f32_e32 v43, v66, v43
	v_add_f32_e32 v36, v48, v36
	;; [unrolled: 1-line block ×5, first 2 shown]
	s_waitcnt vmcnt(0)
	v_add_f32_e32 v35, v35, v34
	buffer_load_dword v34, off, s[16:19], 0 offset:24 ; 4-byte Folded Reload
	s_waitcnt vmcnt(0)
	v_add_f32_e32 v35, v35, v34
	v_mul_u32_u24_sdwa v34, v235, v41 dst_sel:DWORD dst_unused:UNUSED_PAD src0_sel:WORD_0 src1_sel:DWORD
	v_add_f32_e32 v41, v44, v36
	v_add_f32_e32 v36, v40, v45
	;; [unrolled: 1-line block ×4, first 2 shown]
	v_fmamk_f32 v35, v64, 0x3f3d2fb0, v42
	v_fma_f32 v42, 0x3f3d2fb0, v64, -v42
	v_add_lshl_u32 v44, v34, v234, 3
	v_add_f32_e32 v34, v49, v70
	v_add_f32_e32 v38, v46, v118
	;; [unrolled: 1-line block ×5, first 2 shown]
	ds_write2_b64 v44, v[38:39], v[152:153] offset1:3
	ds_write2_b64 v44, v[36:37], v[166:167] offset0:6 offset1:9
	ds_write2_b64 v44, v[34:35], v[193:194] offset0:12 offset1:15
	;; [unrolled: 1-line block ×7, first 2 shown]
	ds_write_b64 v44, v[109:110] offset:384
.LBB0_11:
	s_or_b32 exec_lo, exec_lo, s1
	v_mad_u64_u32 v[44:45], null, v132, 48, s[2:3]
	s_waitcnt lgkmcnt(0)
	s_waitcnt_vscnt null, 0x0
	s_barrier
	buffer_gl0_inv
	v_add_nc_u32_e32 v46, 0x800, v131
	v_add_nc_u32_e32 v52, 0xc00, v131
	;; [unrolled: 1-line block ×3, first 2 shown]
	s_clause 0x2
	global_load_dwordx4 v[40:43], v[44:45], off offset:384
	global_load_dwordx4 v[36:39], v[44:45], off offset:400
	;; [unrolled: 1-line block ×3, first 2 shown]
	ds_read2_b64 v[48:51], v131 offset1:51
	ds_read2_b64 v[53:56], v131 offset0:102 offset1:153
	ds_read2_b64 v[57:60], v131 offset0:204 offset1:255
	;; [unrolled: 1-line block ×6, first 2 shown]
	v_mul_i32_i24_e32 v115, 0xffffffd8, v132
	v_mul_hi_i32_i24_e32 v77, 0xffffffd8, v132
	s_waitcnt vmcnt(0) lgkmcnt(0)
	s_barrier
	buffer_gl0_inv
	v_add_co_u32 v117, s1, v44, v115
	v_add_co_ci_u32_e64 v77, s1, v45, v77, s1
	v_add_co_u32 v44, s1, 0x800, v117
	v_add_co_ci_u32_e64 v45, s1, 0, v77, s1
	v_mul_f32_e32 v115, v54, v41
	v_mul_f32_e32 v116, v53, v41
	;; [unrolled: 1-line block ×24, first 2 shown]
	v_fma_f32 v53, v53, v40, -v115
	v_fmac_f32_e32 v116, v54, v40
	v_fma_f32 v54, v57, v42, -v118
	v_fmac_f32_e32 v119, v58, v42
	;; [unrolled: 2-line block ×12, first 2 shown]
	v_add_f32_e32 v65, v53, v62
	v_add_f32_e32 v66, v116, v127
	;; [unrolled: 1-line block ×4, first 2 shown]
	v_sub_f32_e32 v53, v53, v62
	v_sub_f32_e32 v54, v54, v61
	v_sub_f32_e32 v61, v119, v125
	v_add_f32_e32 v69, v57, v58
	v_add_f32_e32 v70, v121, v123
	v_sub_f32_e32 v57, v58, v57
	v_sub_f32_e32 v58, v123, v121
	v_add_f32_e32 v71, v55, v64
	v_add_f32_e32 v72, v129, v141
	;; [unrolled: 1-line block ×4, first 2 shown]
	v_sub_f32_e32 v62, v116, v127
	v_sub_f32_e32 v55, v55, v64
	v_sub_f32_e32 v64, v129, v141
	v_sub_f32_e32 v56, v56, v63
	v_sub_f32_e32 v63, v133, v139
	v_add_f32_e32 v75, v59, v60
	v_add_f32_e32 v76, v135, v137
	v_sub_f32_e32 v59, v60, v59
	v_sub_f32_e32 v60, v137, v135
	v_add_f32_e32 v115, v67, v65
	v_add_f32_e32 v116, v68, v66
	v_sub_f32_e32 v118, v67, v65
	v_sub_f32_e32 v119, v68, v66
	;; [unrolled: 1-line block ×6, first 2 shown]
	v_add_f32_e32 v120, v57, v54
	v_add_f32_e32 v121, v58, v61
	v_sub_f32_e32 v122, v57, v54
	v_sub_f32_e32 v123, v58, v61
	;; [unrolled: 1-line block ×3, first 2 shown]
	v_add_f32_e32 v124, v73, v71
	v_add_f32_e32 v125, v74, v72
	v_sub_f32_e32 v61, v61, v62
	v_sub_f32_e32 v126, v73, v71
	;; [unrolled: 1-line block ×7, first 2 shown]
	v_add_f32_e32 v128, v59, v56
	v_add_f32_e32 v129, v60, v63
	v_sub_f32_e32 v130, v59, v56
	v_sub_f32_e32 v133, v60, v63
	;; [unrolled: 1-line block ×4, first 2 shown]
	v_add_f32_e32 v69, v69, v115
	v_add_f32_e32 v70, v70, v116
	v_sub_f32_e32 v57, v53, v57
	v_sub_f32_e32 v58, v62, v58
	v_add_f32_e32 v53, v120, v53
	v_add_f32_e32 v62, v121, v62
	v_mul_f32_e32 v65, 0x3f4a47b2, v65
	v_mul_f32_e32 v66, 0x3f4a47b2, v66
	v_mul_f32_e32 v115, 0x3d64c772, v67
	v_mul_f32_e32 v116, 0x3d64c772, v68
	v_mul_f32_e32 v120, 0xbf08b237, v122
	v_mul_f32_e32 v121, 0xbf08b237, v123
	v_mul_f32_e32 v122, 0x3f5ff5aa, v54
	v_add_f32_e32 v75, v75, v124
	v_add_f32_e32 v76, v76, v125
	v_sub_f32_e32 v59, v55, v59
	v_sub_f32_e32 v60, v64, v60
	v_mul_f32_e32 v123, 0x3f5ff5aa, v61
	v_add_f32_e32 v55, v128, v55
	v_add_f32_e32 v64, v129, v64
	v_mul_f32_e32 v71, 0x3f4a47b2, v71
	v_mul_f32_e32 v72, 0x3f4a47b2, v72
	;; [unrolled: 1-line block ×8, first 2 shown]
	v_add_f32_e32 v48, v48, v69
	v_add_f32_e32 v49, v49, v70
	v_fmamk_f32 v67, v67, 0x3d64c772, v65
	v_fmamk_f32 v68, v68, 0x3d64c772, v66
	v_fma_f32 v115, 0x3f3bfb3b, v118, -v115
	v_fma_f32 v116, 0x3f3bfb3b, v119, -v116
	;; [unrolled: 1-line block ×4, first 2 shown]
	v_fmamk_f32 v118, v57, 0x3eae86e6, v120
	v_fmamk_f32 v119, v58, 0x3eae86e6, v121
	v_fma_f32 v120, 0x3f5ff5aa, v54, -v120
	v_fma_f32 v61, 0x3f5ff5aa, v61, -v121
	;; [unrolled: 1-line block ×3, first 2 shown]
	v_add_f32_e32 v50, v50, v75
	v_add_f32_e32 v51, v51, v76
	v_fma_f32 v122, 0xbeae86e6, v58, -v123
	v_fmamk_f32 v54, v73, 0x3d64c772, v71
	v_fmamk_f32 v57, v74, 0x3d64c772, v72
	v_fma_f32 v58, 0x3f3bfb3b, v126, -v124
	v_fma_f32 v73, 0x3f3bfb3b, v127, -v125
	;; [unrolled: 1-line block ×4, first 2 shown]
	v_fmamk_f32 v123, v59, 0x3eae86e6, v128
	v_fmamk_f32 v124, v60, 0x3eae86e6, v129
	v_fma_f32 v74, 0x3f5ff5aa, v56, -v128
	v_fma_f32 v125, 0x3f5ff5aa, v63, -v129
	;; [unrolled: 1-line block ×4, first 2 shown]
	v_fmamk_f32 v56, v69, 0xbf955555, v48
	v_fmamk_f32 v59, v70, 0xbf955555, v49
	v_fmac_f32_e32 v118, 0x3ee1c552, v53
	v_fmac_f32_e32 v120, 0x3ee1c552, v53
	;; [unrolled: 1-line block ×3, first 2 shown]
	v_fmamk_f32 v53, v75, 0xbf955555, v50
	v_fmamk_f32 v60, v76, 0xbf955555, v51
	v_fmac_f32_e32 v119, 0x3ee1c552, v62
	v_fmac_f32_e32 v124, 0x3ee1c552, v64
	;; [unrolled: 1-line block ×4, first 2 shown]
	v_add_f32_e32 v63, v67, v56
	v_add_f32_e32 v64, v68, v59
	v_fmac_f32_e32 v61, 0x3ee1c552, v62
	v_fmac_f32_e32 v122, 0x3ee1c552, v62
	v_add_f32_e32 v62, v115, v56
	v_add_f32_e32 v67, v116, v59
	;; [unrolled: 1-line block ×4, first 2 shown]
	v_fmac_f32_e32 v123, 0x3ee1c552, v55
	v_fmac_f32_e32 v126, 0x3ee1c552, v55
	v_add_f32_e32 v75, v54, v53
	v_add_f32_e32 v76, v57, v60
	;; [unrolled: 1-line block ×4, first 2 shown]
	v_fmac_f32_e32 v74, 0x3ee1c552, v55
	v_add_f32_e32 v115, v58, v53
	v_add_f32_e32 v73, v73, v60
	;; [unrolled: 1-line block ×3, first 2 shown]
	v_sub_f32_e32 v54, v64, v118
	v_add_f32_e32 v55, v122, v65
	v_sub_f32_e32 v56, v66, v121
	v_sub_f32_e32 v57, v62, v61
	v_add_f32_e32 v58, v120, v67
	v_add_f32_e32 v59, v61, v62
	v_sub_f32_e32 v60, v67, v120
	v_sub_f32_e32 v61, v65, v122
	v_add_f32_e32 v62, v121, v66
	v_sub_f32_e32 v63, v63, v119
	v_add_f32_e32 v64, v118, v64
	v_add_f32_e32 v65, v124, v75
	v_sub_f32_e32 v66, v76, v123
	v_add_f32_e32 v67, v127, v116
	v_sub_f32_e32 v68, v128, v126
	v_sub_f32_e32 v69, v115, v125
	v_add_f32_e32 v70, v74, v73
	v_add_f32_e32 v71, v125, v115
	v_sub_f32_e32 v72, v73, v74
	v_sub_f32_e32 v73, v116, v127
	v_add_f32_e32 v74, v126, v128
	v_sub_f32_e32 v75, v75, v124
	v_add_f32_e32 v76, v123, v76
	ds_write2_b64 v131, v[48:49], v[53:54] offset1:51
	ds_write2_b64 v131, v[55:56], v[57:58] offset0:102 offset1:153
	ds_write2_b64 v131, v[59:60], v[61:62] offset0:204 offset1:255
	ds_write2_b64 v46, v[63:64], v[50:51] offset0:50 offset1:101
	ds_write2_b64 v46, v[65:66], v[67:68] offset0:152 offset1:203
	ds_write2_b64 v52, v[69:70], v[71:72] offset0:126 offset1:177
	ds_write2_b64 v47, v[73:74], v[75:76] offset0:100 offset1:151
	v_add_co_u32 v48, s1, 0x1000, v117
	s_waitcnt lgkmcnt(0)
	s_barrier
	buffer_gl0_inv
	s_clause 0x1
	global_load_dwordx2 v[121:122], v[44:45], off offset:784
	global_load_dwordx2 v[115:116], v[44:45], off offset:1192
	v_add_co_ci_u32_e64 v49, s1, 0, v77, s1
	s_clause 0x4
	global_load_dwordx2 v[127:128], v[44:45], off offset:1600
	global_load_dwordx2 v[125:126], v[44:45], off offset:2008
	;; [unrolled: 1-line block ×5, first 2 shown]
	ds_read2_b64 v[48:51], v46 offset0:50 offset1:101
	ds_read2_b64 v[53:56], v46 offset0:152 offset1:203
	;; [unrolled: 1-line block ×4, first 2 shown]
	ds_read2_b64 v[65:68], v131 offset1:51
	ds_read2_b64 v[69:72], v131 offset0:102 offset1:153
	ds_read2_b64 v[73:76], v131 offset0:204 offset1:255
	s_waitcnt vmcnt(6) lgkmcnt(6)
	v_mul_f32_e32 v44, v51, v122
	v_mul_f32_e32 v45, v50, v122
	s_waitcnt vmcnt(5) lgkmcnt(5)
	v_mul_f32_e32 v77, v54, v116
	v_mul_f32_e32 v129, v53, v116
	s_waitcnt vmcnt(4)
	v_mul_f32_e32 v130, v56, v128
	v_mul_f32_e32 v133, v55, v128
	s_waitcnt vmcnt(3) lgkmcnt(4)
	v_mul_f32_e32 v134, v58, v126
	v_mul_f32_e32 v135, v57, v126
	s_waitcnt vmcnt(2)
	;; [unrolled: 6-line block ×3, first 2 shown]
	v_mul_f32_e32 v140, v64, v118
	v_mul_f32_e32 v141, v63, v118
	v_fma_f32 v44, v50, v121, -v44
	v_fmac_f32_e32 v45, v51, v121
	v_fma_f32 v50, v53, v115, -v77
	v_fmac_f32_e32 v129, v54, v115
	;; [unrolled: 2-line block ×7, first 2 shown]
	s_waitcnt lgkmcnt(2)
	v_sub_f32_e32 v44, v65, v44
	v_sub_f32_e32 v45, v66, v45
	v_sub_f32_e32 v53, v67, v50
	v_sub_f32_e32 v54, v68, v129
	s_waitcnt lgkmcnt(1)
	v_sub_f32_e32 v55, v69, v51
	v_sub_f32_e32 v56, v70, v133
	v_sub_f32_e32 v57, v71, v57
	v_sub_f32_e32 v58, v72, v135
	;; [unrolled: 5-line block ×3, first 2 shown]
	v_sub_f32_e32 v50, v48, v63
	v_sub_f32_e32 v51, v49, v141
	v_fma_f32 v63, v65, 2.0, -v44
	v_fma_f32 v64, v66, 2.0, -v45
	;; [unrolled: 1-line block ×14, first 2 shown]
	ds_write_b64 v131, v[44:45] offset:2856
	ds_write2_b64 v131, v[63:64], v[65:66] offset1:51
	ds_write2_b64 v46, v[53:54], v[55:56] offset0:152 offset1:203
	ds_write2_b64 v131, v[67:68], v[69:70] offset0:102 offset1:153
	;; [unrolled: 1-line block ×4, first 2 shown]
	ds_write_b64 v131, v[48:49] offset:2448
	ds_write2_b64 v47, v[61:62], v[50:51] offset0:100 offset1:151
	s_waitcnt lgkmcnt(0)
	s_barrier
	buffer_gl0_inv
	global_load_dwordx2 v[57:58], v[80:81], off offset:1616
	v_add_co_u32 v44, s1, 0x1650, v78
	v_add_co_ci_u32_e64 v45, s1, 0, v79, s1
	v_add_co_u32 v53, s1, 0x1800, v78
	v_add_co_ci_u32_e64 v54, s1, 0, v79, s1
	global_load_dwordx2 v[129:130], v[44:45], off offset:408
	v_add_co_u32 v55, s1, 0x2000, v78
	v_add_co_ci_u32_e64 v56, s1, 0, v79, s1
	s_clause 0x3
	global_load_dwordx2 v[140:141], v[44:45], off offset:1904
	global_load_dwordx2 v[142:143], v[53:54], off offset:1880
	;; [unrolled: 1-line block ×4, first 2 shown]
	v_add_co_u32 v53, s1, 0x2800, v78
	v_add_co_ci_u32_e64 v54, s1, 0, v79, s1
	s_clause 0x5
	global_load_dwordx2 v[148:149], v[44:45], off offset:816
	global_load_dwordx2 v[150:151], v[55:56], off offset:240
	global_load_dwordx2 v[152:153], v[53:54], off offset:96
	global_load_dwordx2 v[154:155], v[44:45], off offset:1224
	global_load_dwordx2 v[156:157], v[55:56], off offset:648
	global_load_dwordx2 v[158:159], v[53:54], off offset:504
	ds_read2_b64 v[53:56], v131 offset1:51
	s_waitcnt vmcnt(11) lgkmcnt(0)
	v_mul_f32_e32 v60, v54, v58
	v_mul_f32_e32 v59, v53, v58
	v_fma_f32 v58, v53, v57, -v60
	v_fmac_f32_e32 v59, v54, v57
	v_add_nc_u32_e32 v53, 0x400, v131
	s_waitcnt vmcnt(10)
	v_mul_f32_e32 v161, v55, v130
	v_mul_f32_e32 v54, v56, v130
	ds_write_b64 v131, v[58:59]
	ds_read2_b64 v[57:60], v53 offset0:110 offset1:161
	ds_read2_b64 v[61:64], v52 offset0:92 offset1:143
	;; [unrolled: 1-line block ×5, first 2 shown]
	v_fmac_f32_e32 v161, v56, v129
	v_fma_f32 v160, v55, v129, -v54
	s_waitcnt vmcnt(9) lgkmcnt(4)
	v_mul_f32_e32 v54, v58, v141
	s_waitcnt vmcnt(7) lgkmcnt(3)
	v_mul_f32_e32 v56, v62, v145
	v_mul_f32_e32 v130, v61, v145
	s_waitcnt vmcnt(5) lgkmcnt(2)
	v_mul_f32_e32 v134, v66, v149
	v_mul_f32_e32 v145, v65, v149
	v_mul_f32_e32 v55, v57, v141
	v_mul_f32_e32 v77, v60, v143
	v_mul_f32_e32 v141, v59, v143
	v_mul_f32_e32 v133, v64, v147
	v_mul_f32_e32 v143, v63, v147
	s_waitcnt vmcnt(4) lgkmcnt(1)
	v_mul_f32_e32 v135, v70, v151
	v_mul_f32_e32 v147, v69, v151
	s_waitcnt vmcnt(3) lgkmcnt(0)
	v_mul_f32_e32 v136, v74, v153
	v_mul_f32_e32 v149, v73, v153
	s_waitcnt vmcnt(2)
	v_mul_f32_e32 v137, v68, v155
	v_mul_f32_e32 v151, v67, v155
	s_waitcnt vmcnt(1)
	;; [unrolled: 3-line block ×3, first 2 shown]
	v_mul_f32_e32 v139, v76, v159
	v_mul_f32_e32 v155, v75, v159
	v_fma_f32 v129, v61, v144, -v56
	v_fmac_f32_e32 v130, v62, v144
	v_fma_f32 v144, v65, v148, -v134
	v_fmac_f32_e32 v145, v66, v148
	;; [unrolled: 2-line block ×10, first 2 shown]
	ds_write2_b64 v131, v[160:161], v[144:145] offset0:51 offset1:102
	ds_write2_b64 v46, v[140:141], v[146:147] offset0:33 offset1:84
	;; [unrolled: 1-line block ×5, first 2 shown]
	ds_write_b64 v131, v[154:155] offset:5032
	s_and_saveexec_b32 s2, vcc_lo
	s_cbranch_execz .LBB0_13
; %bb.12:
	v_add_co_u32 v54, s1, 0x800, v44
	v_add_co_ci_u32_e64 v55, s1, 0, v45, s1
	global_load_dwordx2 v[58:59], v[44:45], off offset:1632
	v_add_co_u32 v44, s1, 0x1000, v44
	v_add_co_ci_u32_e64 v45, s1, 0, v45, s1
	s_clause 0x1
	global_load_dwordx2 v[60:61], v[54:55], off offset:1488
	global_load_dwordx2 v[44:45], v[44:45], off offset:1344
	v_add_nc_u32_e32 v66, 0x600, v131
	ds_read2_b64 v[54:57], v66 offset0:12 offset1:250
	ds_read_b64 v[62:63], v131 offset:5440
	s_waitcnt vmcnt(2) lgkmcnt(1)
	v_mul_f32_e32 v64, v55, v59
	v_mul_f32_e32 v65, v54, v59
	v_fma_f32 v64, v54, v58, -v64
	s_waitcnt vmcnt(1)
	v_mul_f32_e32 v54, v57, v61
	v_mul_f32_e32 v59, v56, v61
	s_waitcnt vmcnt(0) lgkmcnt(0)
	v_mul_f32_e32 v67, v63, v45
	v_mul_f32_e32 v61, v62, v45
	v_fmac_f32_e32 v65, v55, v58
	v_fma_f32 v58, v56, v60, -v54
	v_fmac_f32_e32 v59, v57, v60
	v_fma_f32 v60, v62, v44, -v67
	v_fmac_f32_e32 v61, v63, v44
	ds_write2_b64 v66, v[64:65], v[58:59] offset0:12 offset1:250
	ds_write_b64 v131, v[60:61] offset:5440
.LBB0_13:
	s_or_b32 exec_lo, exec_lo, s2
	s_waitcnt lgkmcnt(0)
	s_barrier
	buffer_gl0_inv
	ds_read2_b64 v[56:59], v131 offset1:51
	ds_read2_b64 v[60:63], v53 offset0:110 offset1:161
	ds_read2_b64 v[64:67], v52 offset0:92 offset1:143
	ds_read2_b64 v[52:55], v131 offset0:102 offset1:153
	ds_read2_b64 v[70:73], v46 offset0:84 offset1:135
	ds_read2_b64 v[74:77], v47 offset0:66 offset1:117
	s_and_saveexec_b32 s1, vcc_lo
	s_cbranch_execz .LBB0_15
; %bb.14:
	v_add_nc_u32_e32 v44, 0x600, v131
	ds_read2_b64 v[48:51], v44 offset0:12 offset1:250
	ds_read_b64 v[113:114], v131 offset:5440
.LBB0_15:
	s_or_b32 exec_lo, exec_lo, s1
	s_waitcnt lgkmcnt(3)
	v_add_f32_e32 v44, v60, v64
	v_add_f32_e32 v45, v56, v60
	;; [unrolled: 1-line block ×3, first 2 shown]
	v_sub_f32_e32 v47, v61, v65
	v_sub_f32_e32 v60, v60, v64
	v_fma_f32 v68, -0.5, v44, v56
	v_add_f32_e32 v56, v57, v61
	v_add_f32_e32 v44, v45, v64
	v_fma_f32 v69, -0.5, v46, v57
	v_add_f32_e32 v57, v58, v62
	v_fmamk_f32 v46, v47, 0xbf5db3d7, v68
	v_add_f32_e32 v45, v56, v65
	v_add_f32_e32 v56, v62, v66
	v_fmac_f32_e32 v68, 0x3f5db3d7, v47
	v_fmamk_f32 v47, v60, 0x3f5db3d7, v69
	v_fmac_f32_e32 v69, 0xbf5db3d7, v60
	v_add_f32_e32 v60, v63, v67
	v_fma_f32 v58, -0.5, v56, v58
	v_sub_f32_e32 v61, v63, v67
	v_add_f32_e32 v129, v57, v66
	v_add_f32_e32 v57, v59, v63
	v_fmac_f32_e32 v59, -0.5, v60
	v_sub_f32_e32 v60, v62, v66
	v_fmamk_f32 v56, v61, 0xbf5db3d7, v58
	v_fmac_f32_e32 v58, 0x3f5db3d7, v61
	s_waitcnt lgkmcnt(0)
	v_add_f32_e32 v61, v70, v74
	v_add_f32_e32 v62, v52, v70
	;; [unrolled: 1-line block ×3, first 2 shown]
	v_fmamk_f32 v57, v60, 0x3f5db3d7, v59
	v_fmac_f32_e32 v59, 0xbf5db3d7, v60
	v_add_f32_e32 v63, v71, v75
	v_fma_f32 v60, -0.5, v61, v52
	v_sub_f32_e32 v52, v71, v75
	v_add_f32_e32 v64, v62, v74
	v_add_f32_e32 v62, v53, v71
	v_fma_f32 v61, -0.5, v63, v53
	v_sub_f32_e32 v53, v70, v74
	v_fmamk_f32 v66, v52, 0xbf5db3d7, v60
	v_fmac_f32_e32 v60, 0x3f5db3d7, v52
	v_add_f32_e32 v65, v62, v75
	v_add_f32_e32 v52, v72, v76
	;; [unrolled: 1-line block ×3, first 2 shown]
	v_fmamk_f32 v67, v53, 0x3f5db3d7, v61
	v_fmac_f32_e32 v61, 0xbf5db3d7, v53
	v_add_f32_e32 v53, v73, v77
	v_fma_f32 v54, -0.5, v52, v54
	v_sub_f32_e32 v63, v73, v77
	v_add_f32_e32 v52, v62, v76
	v_add_f32_e32 v62, v55, v73
	v_fmac_f32_e32 v55, -0.5, v53
	v_sub_f32_e32 v70, v72, v76
	v_fmamk_f32 v76, v63, 0xbf5db3d7, v54
	v_fmac_f32_e32 v54, 0x3f5db3d7, v63
	v_add_f32_e32 v53, v62, v77
	v_add_f32_e32 v62, v50, v113
	v_add_f32_e32 v63, v51, v114
	v_fmamk_f32 v77, v70, 0x3f5db3d7, v55
	v_fmac_f32_e32 v55, 0xbf5db3d7, v70
	v_add_f32_e32 v70, v50, v48
	v_fmac_f32_e32 v48, -0.5, v62
	v_sub_f32_e32 v62, v51, v114
	v_add_f32_e32 v51, v51, v49
	v_fmac_f32_e32 v49, -0.5, v63
	v_sub_f32_e32 v50, v50, v113
	v_add_f32_e32 v72, v113, v70
	v_fmamk_f32 v74, v62, 0xbf5db3d7, v48
	v_fmac_f32_e32 v48, 0x3f5db3d7, v62
	v_add_f32_e32 v73, v114, v51
	v_fmamk_f32 v75, v50, 0x3f5db3d7, v49
	v_fmac_f32_e32 v49, 0xbf5db3d7, v50
	s_barrier
	buffer_gl0_inv
	ds_write2_b64 v236, v[44:45], v[46:47] offset1:1
	ds_write_b64 v236, v[68:69] offset:16
	ds_write2_b64 v238, v[129:130], v[56:57] offset1:1
	ds_write_b64 v238, v[58:59] offset:16
	;; [unrolled: 2-line block ×4, first 2 shown]
	s_and_saveexec_b32 s1, vcc_lo
	s_cbranch_execz .LBB0_17
; %bb.16:
	v_lshlrev_b32_e32 v50, 3, v239
	ds_write2_b64 v50, v[72:73], v[74:75] offset1:1
	ds_write_b64 v50, v[48:49] offset:16
.LBB0_17:
	s_or_b32 exec_lo, exec_lo, s1
	s_waitcnt lgkmcnt(0)
	s_barrier
	buffer_gl0_inv
	s_and_saveexec_b32 s1, s0
	s_cbranch_execz .LBB0_19
; %bb.18:
	v_add_nc_u32_e32 v44, 0x1000, v131
	v_add_nc_u32_e32 v45, 0x800, v131
	ds_read2_b64 v[56:59], v131 offset0:168 offset1:210
	v_add_nc_u32_e32 v64, 0x400, v131
	ds_read2_b64 v[68:71], v131 offset0:84 offset1:126
	ds_read2_b64 v[48:51], v44 offset0:76 offset1:118
	;; [unrolled: 1-line block ×4, first 2 shown]
	v_add_nc_u32_e32 v72, 0xc00, v131
	ds_read2_b64 v[44:47], v131 offset1:42
	ds_read_b64 v[109:110], v131 offset:5376
	ds_read2_b64 v[64:67], v64 offset0:124 offset1:166
	ds_read2_b64 v[72:75], v72 offset0:120 offset1:162
	s_waitcnt lgkmcnt(7)
	v_mov_b32_e32 v129, v70
	s_waitcnt lgkmcnt(6)
	v_mov_b32_e32 v111, v50
	v_mov_b32_e32 v112, v51
	s_waitcnt lgkmcnt(5)
	v_mov_b32_e32 v76, v52
	;; [unrolled: 3-line block ×3, first 2 shown]
	v_mov_b32_e32 v53, v63
	v_mov_b32_e32 v130, v71
.LBB0_19:
	s_or_b32 exec_lo, exec_lo, s1
	s_waitcnt lgkmcnt(0)
	s_barrier
	buffer_gl0_inv
	s_and_saveexec_b32 s1, s0
	s_cbranch_execz .LBB0_21
; %bb.20:
	v_mul_f32_e32 v70, v17, v47
	v_mul_f32_e32 v50, v31, v110
	;; [unrolled: 1-line block ×5, first 2 shown]
	v_fmac_f32_e32 v70, v16, v46
	v_fmac_f32_e32 v50, v30, v109
	v_mul_f32_e32 v31, v29, v112
	v_fma_f32 v46, v30, v110, -v51
	v_fma_f32 v110, v16, v47, -v17
	v_mul_f32_e32 v17, v29, v111
	v_sub_f32_e32 v30, v70, v50
	v_fmac_f32_e32 v71, v18, v68
	v_fmac_f32_e32 v31, v28, v111
	v_mul_f32_e32 v29, v19, v68
	v_mul_f32_e32 v109, v25, v130
	;; [unrolled: 1-line block ×3, first 2 shown]
	v_add_f32_e32 v114, v46, v110
	v_mul_f32_e32 v16, 0xbf763a35, v30
	v_sub_f32_e32 v19, v71, v31
	v_fma_f32 v62, v28, v112, -v17
	v_fma_f32 v113, v18, v69, -v29
	v_fmac_f32_e32 v109, v24, v129
	v_fmac_f32_e32 v51, v22, v48
	v_mul_f32_e32 v23, v23, v48
	v_mul_f32_e32 v25, v25, v129
	;; [unrolled: 1-line block ×4, first 2 shown]
	v_fmamk_f32 v47, v114, 0xbe8c1d8e, v16
	v_mul_f32_e32 v17, 0x3f06c442, v19
	v_add_f32_e32 v129, v62, v113
	v_sub_f32_e32 v18, v109, v51
	v_fma_f32 v68, v22, v49, -v23
	v_fma_f32 v112, v24, v130, -v25
	v_fmac_f32_e32 v111, v26, v56
	v_fmac_f32_e32 v63, v20, v74
	v_mul_f32_e32 v24, v21, v74
	v_mul_f32_e32 v25, v27, v56
	;; [unrolled: 1-line block ×5, first 2 shown]
	v_add_f32_e32 v22, v45, v47
	v_fmamk_f32 v23, v129, 0xbf59a7d5, v17
	v_mul_f32_e32 v145, 0x3f2c7751, v18
	v_add_f32_e32 v130, v68, v112
	v_sub_f32_e32 v21, v111, v63
	v_fma_f32 v69, v20, v75, -v24
	v_fma_f32 v75, v26, v57, -v25
	v_fmac_f32_e32 v74, v8, v58
	v_fmac_f32_e32 v56, v14, v72
	v_mul_f32_e32 v15, v15, v72
	v_fma_f32 v72, v8, v59, -v9
	v_mul_f32_e32 v59, v11, v65
	v_mul_f32_e32 v58, v13, v55
	v_add_f32_e32 v22, v23, v22
	v_fmamk_f32 v23, v130, 0x3f3d2fb0, v145
	v_mul_f32_e32 v146, 0xbf65296c, v21
	v_add_f32_e32 v135, v69, v75
	v_sub_f32_e32 v20, v74, v56
	v_fma_f32 v57, v14, v73, -v15
	v_fmac_f32_e32 v59, v10, v64
	v_fmac_f32_e32 v58, v12, v54
	v_mul_f32_e32 v13, v13, v54
	v_mul_f32_e32 v11, v11, v64
	v_mul_f32_e32 v64, v1, v67
	v_mul_f32_e32 v54, v7, v77
	v_add_f32_e32 v8, v23, v22
	v_fmamk_f32 v9, v135, 0x3ee437d1, v146
	v_mul_f32_e32 v14, 0xbe3c28d5, v20
	v_add_f32_e32 v136, v57, v72
	v_sub_f32_e32 v22, v59, v58
	v_fma_f32 v55, v12, v55, -v13
	v_fma_f32 v73, v10, v65, -v11
	v_fmac_f32_e32 v64, v0, v66
	v_fmac_f32_e32 v54, v6, v76
	v_mul_f32_e32 v7, v7, v76
	v_mul_f32_e32 v1, v1, v66
	v_add_f32_e32 v8, v9, v8
	v_fmamk_f32 v9, v136, 0xbf7ba420, v14
	v_mul_f32_e32 v12, 0x3f7ee86f, v22
	v_add_f32_e32 v143, v55, v73
	v_sub_f32_e32 v23, v64, v54
	v_fma_f32 v65, v6, v77, -v7
	v_fma_f32 v66, v0, v67, -v1
	v_add_f32_e32 v0, v9, v8
	v_fmamk_f32 v1, v143, 0x3dbcf732, v12
	v_mul_f32_e32 v15, 0xbeb8f4ab, v23
	v_sub_f32_e32 v140, v110, v46
	v_add_f32_e32 v76, v65, v66
	v_add_f32_e32 v25, v50, v70
	;; [unrolled: 1-line block ×3, first 2 shown]
	v_sub_f32_e32 v137, v113, v62
	v_mul_f32_e32 v152, 0xbf763a35, v140
	v_fmamk_f32 v1, v76, 0x3f6eb680, v15
	v_add_f32_e32 v26, v31, v71
	v_sub_f32_e32 v138, v112, v68
	v_mul_f32_e32 v147, 0x3f06c442, v137
	v_mul_f32_e32 v67, v5, v53
	v_add_f32_e32 v0, v1, v0
	v_fma_f32 v1, 0xbe8c1d8e, v25, -v152
	v_add_f32_e32 v27, v51, v109
	v_fma_f32 v6, 0xbf59a7d5, v26, -v147
	v_mul_f32_e32 v148, 0x3f2c7751, v138
	v_sub_f32_e32 v139, v75, v69
	v_add_f32_e32 v1, v44, v1
	v_mul_f32_e32 v5, v5, v52
	v_fmac_f32_e32 v67, v4, v52
	v_add_f32_e32 v28, v63, v111
	v_mul_f32_e32 v149, 0xbf65296c, v139
	v_add_f32_e32 v1, v6, v1
	v_fma_f32 v6, 0x3f3d2fb0, v27, -v148
	v_fma_f32 v52, v4, v53, -v5
	v_sub_f32_e32 v53, v72, v57
	v_mul_f32_e32 v77, v3, v61
	v_mul_f32_e32 v3, v3, v60
	v_add_f32_e32 v1, v6, v1
	v_fma_f32 v4, 0x3ee437d1, v28, -v149
	v_add_f32_e32 v29, v56, v74
	v_mul_f32_e32 v151, 0xbe3c28d5, v53
	v_fmac_f32_e32 v77, v2, v60
	v_fma_f32 v60, v2, v61, -v3
	v_add_f32_e32 v1, v4, v1
	v_sub_f32_e32 v61, v73, v55
	v_fma_f32 v2, 0xbf7ba420, v29, -v151
	v_mul_f32_e32 v10, 0xbf4c4adb, v30
	v_sub_f32_e32 v24, v77, v67
	v_add_f32_e32 v48, v58, v59
	v_mul_f32_e32 v153, 0x3f7ee86f, v61
	v_add_f32_e32 v1, v2, v1
	v_sub_f32_e32 v141, v66, v65
	v_fmamk_f32 v2, v114, 0xbf1a4643, v10
	v_mul_f32_e32 v11, 0x3f763a35, v19
	v_mul_f32_e32 v150, 0xbf4c4adb, v24
	v_add_f32_e32 v142, v52, v60
	v_fma_f32 v3, 0x3dbcf732, v48, -v153
	v_add_f32_e32 v47, v54, v64
	v_mul_f32_e32 v133, 0xbeb8f4ab, v141
	v_add_f32_e32 v2, v45, v2
	v_fmamk_f32 v4, v129, 0xbe8c1d8e, v11
	v_mul_f32_e32 v13, 0xbeb8f4ab, v18
	v_fmamk_f32 v5, v142, 0xbf1a4643, v150
	v_add_f32_e32 v3, v3, v1
	v_fma_f32 v6, 0x3f6eb680, v47, -v133
	v_add_f32_e32 v2, v4, v2
	v_fmamk_f32 v4, v130, 0x3f6eb680, v13
	v_mul_f32_e32 v134, 0xbf06c442, v21
	v_add_f32_e32 v1, v5, v0
	v_add_f32_e32 v0, v6, v3
	v_mul_f32_e32 v154, 0x3f7ee86f, v20
	v_add_f32_e32 v2, v4, v2
	v_fmamk_f32 v3, v135, 0xbf59a7d5, v134
	v_mul_f32_e32 v155, 0xbf4c4adb, v140
	v_mul_f32_e32 v156, 0xbf2c7751, v22
	;; [unrolled: 1-line block ×4, first 2 shown]
	v_add_f32_e32 v2, v3, v2
	v_fmamk_f32 v3, v136, 0x3dbcf732, v154
	v_fma_f32 v4, 0xbf1a4643, v25, -v155
	v_fma_f32 v5, 0xbe8c1d8e, v26, -v158
	v_mul_f32_e32 v160, 0xbeb8f4ab, v138
	v_sub_f32_e32 v144, v60, v52
	v_add_f32_e32 v2, v3, v2
	v_fmamk_f32 v3, v143, 0x3f3d2fb0, v156
	v_add_f32_e32 v4, v44, v4
	v_mul_f32_e32 v161, 0xbf06c442, v139
	v_add_f32_e32 v49, v67, v77
	v_mul_f32_e32 v157, 0xbf4c4adb, v144
	v_add_f32_e32 v2, v3, v2
	v_fmamk_f32 v3, v76, 0xbf7ba420, v159
	v_add_f32_e32 v4, v5, v4
	v_fma_f32 v5, 0x3f6eb680, v27, -v160
	v_mul_f32_e32 v8, 0xbf06c442, v30
	v_mul_f32_e32 v162, 0x3f7ee86f, v53
	v_add_f32_e32 v2, v3, v2
	v_fma_f32 v6, 0xbf1a4643, v49, -v157
	v_add_f32_e32 v3, v5, v4
	v_fma_f32 v4, 0xbf59a7d5, v28, -v161
	v_fmamk_f32 v5, v114, 0xbf59a7d5, v8
	v_mul_f32_e32 v9, 0x3f65296c, v19
	v_mul_f32_e32 v164, 0xbf2c7751, v61
	v_add_f32_e32 v0, v6, v0
	v_add_f32_e32 v3, v4, v3
	v_fma_f32 v4, 0x3dbcf732, v29, -v162
	v_mul_f32_e32 v163, 0x3f65296c, v24
	v_add_f32_e32 v5, v45, v5
	v_fmamk_f32 v6, v129, 0x3ee437d1, v9
	v_mul_f32_e32 v165, 0xbf7ee86f, v18
	v_add_f32_e32 v3, v4, v3
	v_fma_f32 v4, 0x3f3d2fb0, v48, -v164
	v_mul_f32_e32 v166, 0xbe3c28d5, v141
	v_add_f32_e32 v5, v6, v5
	v_fmamk_f32 v6, v130, 0x3dbcf732, v165
	v_mul_f32_e32 v167, 0x3f4c4adb, v21
	v_fmamk_f32 v7, v142, 0x3ee437d1, v163
	v_add_f32_e32 v4, v4, v3
	v_fma_f32 v168, 0xbf7ba420, v47, -v166
	v_add_f32_e32 v5, v6, v5
	v_fmamk_f32 v6, v135, 0xbf1a4643, v167
	v_mul_f32_e32 v169, 0xbeb8f4ab, v20
	v_add_f32_e32 v3, v7, v2
	v_add_f32_e32 v2, v168, v4
	v_mul_f32_e32 v168, 0xbf06c442, v140
	v_add_f32_e32 v4, v6, v5
	v_fmamk_f32 v5, v136, 0x3f6eb680, v169
	v_mul_f32_e32 v170, 0xbe3c28d5, v22
	v_mul_f32_e32 v172, 0x3f65296c, v137
	v_fma_f32 v6, 0xbf59a7d5, v25, -v168
	v_mul_f32_e32 v171, 0x3f65296c, v144
	v_add_f32_e32 v4, v5, v4
	v_fmamk_f32 v5, v143, 0xbf7ba420, v170
	v_mul_f32_e32 v173, 0x3f2c7751, v23
	v_add_f32_e32 v6, v44, v6
	v_fma_f32 v7, 0x3ee437d1, v26, -v172
	v_mul_f32_e32 v174, 0xbf7ee86f, v138
	v_fma_f32 v175, 0x3ee437d1, v49, -v171
	v_add_f32_e32 v4, v5, v4
	v_fmamk_f32 v5, v76, 0x3f3d2fb0, v173
	v_add_f32_e32 v6, v7, v6
	v_fma_f32 v7, 0x3dbcf732, v27, -v174
	v_mul_f32_e32 v176, 0x3f4c4adb, v139
	v_add_f32_e32 v2, v175, v2
	v_add_f32_e32 v4, v5, v4
	v_mul_f32_e32 v175, 0xbe3c28d5, v30
	v_add_f32_e32 v5, v7, v6
	v_fma_f32 v6, 0xbf1a4643, v28, -v176
	v_mul_f32_e32 v177, 0xbeb8f4ab, v53
	v_mul_f32_e32 v179, 0x3eb8f4ab, v19
	v_fmamk_f32 v7, v114, 0xbf7ba420, v175
	v_mul_f32_e32 v180, 0xbe3c28d5, v61
	v_add_f32_e32 v5, v6, v5
	v_fma_f32 v6, 0x3f6eb680, v29, -v177
	v_mul_f32_e32 v178, 0xbf763a35, v24
	v_add_f32_e32 v7, v45, v7
	v_fmamk_f32 v181, v129, 0x3f6eb680, v179
	v_mul_f32_e32 v182, 0xbf06c442, v18
	v_add_f32_e32 v5, v6, v5
	v_fma_f32 v6, 0xbf7ba420, v48, -v180
	v_mul_f32_e32 v183, 0x3f2c7751, v141
	v_add_f32_e32 v7, v181, v7
	v_fmamk_f32 v181, v130, 0xbf59a7d5, v182
	v_mul_f32_e32 v184, 0x3f2c7751, v21
	v_fmamk_f32 v185, v142, 0xbe8c1d8e, v178
	v_add_f32_e32 v6, v6, v5
	v_fma_f32 v186, 0x3f3d2fb0, v47, -v183
	v_add_f32_e32 v7, v181, v7
	v_fmamk_f32 v181, v135, 0x3f3d2fb0, v184
	v_mul_f32_e32 v187, 0xbf4c4adb, v20
	v_add_f32_e32 v5, v185, v4
	v_add_f32_e32 v4, v186, v6
	v_mul_f32_e32 v6, 0xbe3c28d5, v140
	v_add_f32_e32 v7, v181, v7
	v_fmamk_f32 v181, v136, 0xbf1a4643, v187
	v_mul_f32_e32 v185, 0x3f65296c, v22
	v_mul_f32_e32 v189, 0x3eb8f4ab, v137
	v_fma_f32 v188, 0xbf7ba420, v25, -v6
	v_mul_f32_e32 v190, 0xbf763a35, v23
	v_add_f32_e32 v7, v181, v7
	v_fmamk_f32 v181, v143, 0x3ee437d1, v185
	v_fma_f32 v191, 0x3f6eb680, v26, -v189
	v_add_f32_e32 v188, v44, v188
	v_mul_f32_e32 v192, 0xbf06c442, v138
	v_mul_f32_e32 v194, 0x3f2c7751, v139
	v_add_f32_e32 v7, v181, v7
	v_fmamk_f32 v181, v76, 0xbe8c1d8e, v190
	v_add_f32_e32 v188, v191, v188
	v_fma_f32 v191, 0xbf59a7d5, v27, -v192
	v_fma_f32 v175, 0xbf7ba420, v114, -v175
	;; [unrolled: 1-line block ×3, first 2 shown]
	v_add_f32_e32 v7, v181, v7
	v_mul_f32_e32 v195, 0x3f65296c, v61
	v_add_f32_e32 v181, v191, v188
	v_fma_f32 v188, 0x3f3d2fb0, v28, -v194
	v_mul_f32_e32 v191, 0xbf4c4adb, v53
	v_add_f32_e32 v175, v45, v175
	v_fmac_f32_e32 v6, 0xbf7ba420, v25
	v_fmac_f32_e32 v189, 0x3f6eb680, v26
	v_add_f32_e32 v181, v188, v181
	v_fma_f32 v188, 0xbf1a4643, v29, -v191
	v_add_f32_e32 v175, v179, v175
	v_fma_f32 v179, 0xbf59a7d5, v130, -v182
	v_fma_f32 v182, 0x3ee437d1, v48, -v195
	;; [unrolled: 1-line block ×3, first 2 shown]
	v_add_f32_e32 v181, v188, v181
	v_mul_f32_e32 v188, 0xbf763a35, v141
	v_add_f32_e32 v175, v179, v175
	v_fma_f32 v179, 0x3f3d2fb0, v135, -v184
	v_mul_f32_e32 v184, 0x3f7ee86f, v144
	v_add_f32_e32 v181, v182, v181
	v_fma_f32 v182, 0xbe8c1d8e, v47, -v188
	v_fmac_f32_e32 v192, 0xbf59a7d5, v27
	v_add_f32_e32 v175, v179, v175
	v_fma_f32 v179, 0xbf1a4643, v136, -v187
	v_add_f32_e32 v187, v44, v6
	v_add_f32_e32 v181, v182, v181
	v_fma_f32 v182, 0x3dbcf732, v49, -v184
	v_add_f32_e32 v8, v45, v8
	v_fma_f32 v9, 0x3ee437d1, v129, -v9
	v_fmac_f32_e32 v194, 0x3f3d2fb0, v28
	v_fma_f32 v165, 0x3dbcf732, v130, -v165
	v_add_f32_e32 v6, v182, v181
	v_add_f32_e32 v181, v189, v187
	;; [unrolled: 1-line block ×3, first 2 shown]
	v_fmac_f32_e32 v191, 0xbf1a4643, v29
	v_fmac_f32_e32 v168, 0xbf59a7d5, v25
	;; [unrolled: 1-line block ×3, first 2 shown]
	v_add_f32_e32 v181, v192, v181
	v_add_f32_e32 v8, v165, v8
	v_fma_f32 v165, 0xbf1a4643, v135, -v167
	v_add_f32_e32 v168, v44, v168
	v_fmac_f32_e32 v172, 0x3ee437d1, v26
	v_add_f32_e32 v181, v194, v181
	v_fmac_f32_e32 v188, 0xbe8c1d8e, v47
	v_add_f32_e32 v8, v165, v8
	v_fma_f32 v165, 0x3f6eb680, v136, -v169
	v_add_f32_e32 v168, v172, v168
	v_add_f32_e32 v167, v191, v181
	v_fmac_f32_e32 v174, 0x3dbcf732, v27
	v_fmac_f32_e32 v184, 0x3dbcf732, v49
	v_add_f32_e32 v8, v165, v8
	v_fma_f32 v165, 0xbf7ba420, v143, -v170
	v_add_f32_e32 v167, v195, v167
	v_add_f32_e32 v168, v174, v168
	v_fmac_f32_e32 v176, 0xbf1a4643, v28
	v_fma_f32 v169, 0x3f3d2fb0, v76, -v173
	v_add_f32_e32 v165, v165, v8
	v_add_f32_e32 v167, v188, v167
	v_fma_f32 v10, 0xbf1a4643, v114, -v10
	v_fmac_f32_e32 v177, 0x3f6eb680, v29
	v_fmac_f32_e32 v180, 0xbf7ba420, v48
	v_add_f32_e32 v165, v169, v165
	v_add_f32_e32 v8, v184, v167
	;; [unrolled: 1-line block ×3, first 2 shown]
	v_fma_f32 v168, 0xbe8c1d8e, v142, -v178
	v_add_f32_e32 v10, v45, v10
	v_fma_f32 v169, 0xbe8c1d8e, v129, -v11
	v_fmac_f32_e32 v155, 0xbf1a4643, v25
	v_add_f32_e32 v167, v177, v167
	v_mul_f32_e32 v186, 0xbf763a35, v144
	v_add_f32_e32 v11, v168, v165
	v_add_f32_e32 v10, v169, v10
	v_fma_f32 v13, 0x3f6eb680, v130, -v13
	v_add_f32_e32 v165, v180, v167
	v_fmac_f32_e32 v183, 0x3f3d2fb0, v47
	v_add_f32_e32 v155, v44, v155
	v_fmac_f32_e32 v158, 0xbe8c1d8e, v26
	v_fma_f32 v193, 0xbe8c1d8e, v49, -v186
	v_add_f32_e32 v10, v13, v10
	v_fma_f32 v13, 0xbf59a7d5, v135, -v134
	v_add_f32_e32 v134, v183, v165
	v_fmac_f32_e32 v186, 0xbe8c1d8e, v49
	v_add_f32_e32 v155, v158, v155
	v_fmac_f32_e32 v160, 0x3f6eb680, v27
	v_add_f32_e32 v13, v13, v10
	v_fma_f32 v16, 0xbe8c1d8e, v114, -v16
	v_add_f32_e32 v10, v186, v134
	v_fmac_f32_e32 v161, 0xbf59a7d5, v28
	v_add_f32_e32 v134, v160, v155
	v_fma_f32 v17, 0xbf59a7d5, v129, -v17
	v_add_f32_e32 v16, v45, v16
	v_fmac_f32_e32 v162, 0x3dbcf732, v29
	v_fmac_f32_e32 v164, 0x3f3d2fb0, v48
	v_add_f32_e32 v134, v161, v134
	v_fmac_f32_e32 v166, 0xbf7ba420, v47
	v_add_f32_e32 v16, v17, v16
	v_fma_f32 v17, 0x3f3d2fb0, v130, -v145
	v_fmac_f32_e32 v152, 0xbe8c1d8e, v25
	v_add_f32_e32 v134, v162, v134
	v_fma_f32 v14, 0xbf7ba420, v136, -v14
	;; [unrolled: 3-line block ×3, first 2 shown]
	v_add_f32_e32 v134, v164, v134
	v_fma_f32 v154, 0x3dbcf732, v136, -v154
	v_fmac_f32_e32 v171, 0x3ee437d1, v49
	v_fmac_f32_e32 v148, 0x3f3d2fb0, v27
	v_add_f32_e32 v16, v17, v16
	v_add_f32_e32 v17, v166, v134
	;; [unrolled: 1-line block ×3, first 2 shown]
	v_mul_f32_e32 v152, 0x3dbcf732, v114
	v_add_f32_e32 v13, v154, v13
	v_add_f32_e32 v14, v14, v16
	v_fma_f32 v16, 0x3dbcf732, v143, -v12
	v_add_f32_e32 v134, v147, v134
	v_fma_f32 v154, 0x3f3d2fb0, v143, -v156
	v_add_f32_e32 v12, v171, v17
	v_mul_f32_e32 v147, 0xbf7ba420, v129
	v_add_f32_e32 v14, v16, v14
	v_fmamk_f32 v16, v30, 0x3f7ee86f, v152
	v_add_f32_e32 v17, v148, v134
	v_fmac_f32_e32 v149, 0x3ee437d1, v28
	v_add_f32_e32 v13, v154, v13
	v_fma_f32 v154, 0xbf7ba420, v76, -v159
	v_fma_f32 v15, 0x3f6eb680, v76, -v15
	v_add_f32_e32 v16, v45, v16
	v_fmamk_f32 v134, v19, 0x3e3c28d5, v147
	v_mul_f32_e32 v148, 0xbe8c1d8e, v130
	v_add_f32_e32 v17, v149, v17
	v_fmac_f32_e32 v151, 0xbf7ba420, v29
	v_add_f32_e32 v13, v154, v13
	v_fma_f32 v145, 0x3ee437d1, v142, -v163
	v_add_f32_e32 v14, v15, v14
	v_add_f32_e32 v15, v134, v16
	v_fmamk_f32 v16, v18, 0xbf763a35, v148
	v_mul_f32_e32 v134, 0x3f6eb680, v135
	v_add_f32_e32 v17, v151, v17
	v_fmac_f32_e32 v153, 0x3dbcf732, v48
	v_add_f32_e32 v13, v145, v13
	v_fma_f32 v145, 0xbf1a4643, v142, -v150
	v_add_f32_e32 v16, v16, v15
	v_fmamk_f32 v146, v21, 0xbeb8f4ab, v134
	v_mul_f32_e32 v149, 0x3ee437d1, v136
	v_add_f32_e32 v17, v153, v17
	v_fmac_f32_e32 v133, 0x3f6eb680, v47
	v_add_f32_e32 v15, v145, v14
	v_add_f32_e32 v14, v146, v16
	v_fmamk_f32 v16, v20, 0x3f65296c, v149
	v_mul_f32_e32 v150, 0xbf59a7d5, v143
	v_add_f32_e32 v17, v133, v17
	v_fmac_f32_e32 v157, 0xbf1a4643, v49
	v_mul_f32_e32 v133, 0xbf7ee86f, v140
	v_add_f32_e32 v16, v16, v14
	v_fmamk_f32 v145, v22, 0x3f06c442, v150
	v_mul_f32_e32 v151, 0xbf1a4643, v76
	v_add_f32_e32 v14, v157, v17
	v_fmamk_f32 v17, v25, 0x3dbcf732, v133
	;; [unrolled: 3-line block ×14, first 2 shown]
	v_mul_f32_e32 v166, 0x3f2c7751, v144
	v_add_f32_e32 v175, v179, v175
	v_fma_f32 v179, 0x3ee437d1, v143, -v185
	v_add_f32_e32 v16, v160, v16
	v_fmamk_f32 v160, v20, 0xbf2c7751, v165
	v_mul_f32_e32 v167, 0x3f6eb680, v143
	v_add_f32_e32 v145, v146, v145
	v_fmamk_f32 v146, v49, 0x3f3d2fb0, v166
	v_mul_f32_e32 v168, 0xbf65296c, v140
	v_add_f32_e32 v4, v193, v4
	v_mul_f32_e32 v193, 0x3f7ee86f, v24
	v_add_f32_e32 v175, v179, v175
	v_fma_f32 v179, 0xbe8c1d8e, v76, -v190
	v_add_f32_e32 v160, v160, v16
	v_fmamk_f32 v169, v22, 0x3eb8f4ab, v167
	v_mul_f32_e32 v170, 0x3dbcf732, v76
	v_add_f32_e32 v16, v146, v145
	v_fmamk_f32 v145, v25, 0x3ee437d1, v168
	v_mul_f32_e32 v171, 0xbf4c4adb, v137
	v_add_f32_e32 v175, v179, v175
	v_fma_f32 v179, 0x3dbcf732, v142, -v193
	v_add_f32_e32 v146, v169, v160
	v_fmamk_f32 v160, v23, 0x3f7ee86f, v170
	v_mul_f32_e32 v169, 0xbf59a7d5, v142
	v_add_f32_e32 v145, v44, v145
	v_fmamk_f32 v172, v26, 0xbf1a4643, v171
	v_mul_f32_e32 v173, 0x3e3c28d5, v138
	v_add_f32_e32 v9, v179, v175
	v_add_f32_e32 v146, v160, v146
	v_fmamk_f32 v160, v24, 0x3f06c442, v169
	v_mul_f32_e32 v174, 0x3f3d2fb0, v114
	v_add_f32_e32 v145, v172, v145
	v_fmamk_f32 v172, v27, 0xbf7ba420, v173
	v_mul_f32_e32 v175, 0x3f763a35, v139
	;; [unrolled: 3-line block ×16, first 2 shown]
	v_fmamk_f32 v196, v142, 0x3dbcf732, v193
	v_add_f32_e32 v160, v178, v160
	v_fmamk_f32 v178, v24, 0xbeb8f4ab, v189
	v_add_f32_e32 v172, v190, v172
	v_fmamk_f32 v190, v27, 0xbf1a4643, v191
	v_mul_f32_e32 v193, 0xbe3c28d5, v139
	v_mul_f32_e32 v192, 0x3f6eb680, v114
	v_add_f32_e32 v114, v178, v160
	v_mul_f32_e32 v195, 0x3f763a35, v61
	v_add_f32_e32 v172, v190, v172
	v_fmamk_f32 v178, v28, 0xbf7ba420, v193
	v_mul_f32_e32 v190, 0x3f06c442, v53
	v_add_f32_e32 v110, v110, v45
	v_add_f32_e32 v7, v196, v7
	v_mul_f32_e32 v196, 0x3f65296c, v141
	v_add_f32_e32 v172, v178, v172
	v_fmamk_f32 v178, v29, 0xbf59a7d5, v190
	v_add_f32_e32 v110, v113, v110
	v_mul_f32_e32 v197, 0x3eb8f4ab, v144
	v_add_f32_e32 v70, v44, v70
	v_mul_f32_e32 v140, 0xbeb8f4ab, v140
	v_add_f32_e32 v172, v178, v172
	v_fmamk_f32 v178, v48, 0xbe8c1d8e, v195
	v_add_f32_e32 v110, v112, v110
	v_add_f32_e32 v70, v71, v70
	v_mul_f32_e32 v71, 0xbf2c7751, v137
	v_mul_f32_e32 v61, 0xbf4c4adb, v61
	v_add_f32_e32 v172, v178, v172
	v_fmamk_f32 v178, v47, 0x3ee437d1, v196
	v_add_f32_e32 v75, v75, v110
	v_add_f32_e32 v70, v109, v70
	v_fmamk_f32 v109, v26, 0x3f3d2fb0, v71
	v_mul_f32_e32 v110, 0xbf65296c, v138
	v_add_f32_e32 v172, v178, v172
	v_fmamk_f32 v178, v49, 0x3f6eb680, v197
	v_add_f32_e32 v72, v72, v75
	v_add_f32_e32 v70, v111, v70
	v_mul_f32_e32 v111, 0xbf7ee86f, v139
	v_fmac_f32_e32 v152, 0xbf7ee86f, v30
	v_add_f32_e32 v113, v178, v172
	v_fmamk_f32 v172, v25, 0x3f6eb680, v140
	v_add_f32_e32 v72, v73, v72
	v_add_f32_e32 v70, v74, v70
	v_fmac_f32_e32 v147, 0xbe3c28d5, v19
	v_fmac_f32_e32 v148, 0x3f763a35, v18
	v_add_f32_e32 v112, v44, v172
	v_add_f32_e32 v66, v66, v72
	;; [unrolled: 1-line block ×3, first 2 shown]
	v_mul_f32_e32 v70, 0xbf763a35, v53
	v_fmac_f32_e32 v134, 0x3eb8f4ab, v21
	v_add_f32_e32 v75, v109, v112
	v_fmamk_f32 v109, v27, 0x3ee437d1, v110
	v_add_f32_e32 v60, v60, v66
	v_add_f32_e32 v59, v64, v59
	v_fmamk_f32 v64, v29, 0xbe8c1d8e, v70
	v_fmac_f32_e32 v149, 0xbf65296c, v20
	v_add_f32_e32 v74, v109, v75
	v_fmamk_f32 v75, v28, 0x3dbcf732, v111
	v_add_f32_e32 v52, v52, v60
	v_add_f32_e32 v59, v77, v59
	v_fmac_f32_e32 v150, 0xbf06c442, v22
	v_fmac_f32_e32 v151, 0x3f4c4adb, v23
	v_add_f32_e32 v53, v75, v74
	v_add_f32_e32 v52, v65, v52
	;; [unrolled: 1-line block ×3, first 2 shown]
	v_mul_f32_e32 v65, 0xbe3c28d5, v144
	v_fmac_f32_e32 v156, 0xbf65296c, v30
	v_add_f32_e32 v60, v64, v53
	v_fmamk_f32 v64, v48, 0xbf1a4643, v61
	v_add_f32_e32 v52, v55, v52
	v_add_f32_e32 v54, v54, v59
	;; [unrolled: 1-line block ×3, first 2 shown]
	v_fmac_f32_e32 v159, 0xbf4c4adb, v19
	v_add_f32_e32 v60, v64, v60
	v_mul_f32_e32 v64, 0xbf06c442, v141
	v_add_f32_e32 v52, v57, v52
	v_add_f32_e32 v54, v58, v54
	;; [unrolled: 1-line block ×3, first 2 shown]
	v_fmamk_f32 v58, v49, 0xbf7ba420, v65
	v_fmamk_f32 v59, v47, 0xbf59a7d5, v64
	v_fmac_f32_e32 v161, 0x3e3c28d5, v18
	v_add_f32_e32 v54, v56, v54
	v_add_f32_e32 v55, v148, v55
	v_fmac_f32_e32 v154, 0x3f2c7751, v24
	v_add_f32_e32 v57, v59, v60
	v_add_f32_e32 v59, v69, v52
	;; [unrolled: 1-line block ×4, first 2 shown]
	v_fmac_f32_e32 v163, 0x3f763a35, v21
	v_add_f32_e32 v52, v58, v57
	v_add_f32_e32 v56, v68, v59
	v_fma_f32 v57, 0x3dbcf732, v25, -v133
	v_fma_f32 v58, 0xbf7ba420, v26, -v153
	v_add_f32_e32 v54, v51, v54
	v_add_f32_e32 v55, v149, v55
	;; [unrolled: 1-line block ×4, first 2 shown]
	v_fmac_f32_e32 v165, 0x3f2c7751, v20
	v_add_f32_e32 v31, v31, v54
	v_add_f32_e32 v54, v150, v55
	v_add_f32_e32 v51, v46, v56
	v_add_f32_e32 v46, v58, v57
	v_fma_f32 v56, 0xbe8c1d8e, v27, -v155
	v_fma_f32 v55, 0x3f6eb680, v28, -v158
	v_add_f32_e32 v50, v50, v31
	v_add_f32_e32 v31, v151, v54
	;; [unrolled: 1-line block ×4, first 2 shown]
	v_fma_f32 v56, 0x3ee437d1, v25, -v168
	v_fma_f32 v57, 0xbf1a4643, v26, -v171
	;; [unrolled: 1-line block ×3, first 2 shown]
	v_add_f32_e32 v54, v159, v54
	v_add_f32_e32 v46, v55, v46
	v_fma_f32 v55, 0x3ee437d1, v29, -v157
	v_add_f32_e32 v56, v44, v56
	v_fmac_f32_e32 v167, 0xbeb8f4ab, v22
	v_add_f32_e32 v54, v161, v54
	v_fmac_f32_e32 v174, 0xbf2c7751, v30
	v_add_f32_e32 v46, v55, v46
	v_fma_f32 v55, 0xbf59a7d5, v48, -v162
	v_add_f32_e32 v56, v57, v56
	v_fma_f32 v57, 0xbf7ba420, v27, -v173
	v_add_f32_e32 v54, v163, v54
	v_fmac_f32_e32 v170, 0xbf7ee86f, v23
	v_add_f32_e32 v46, v55, v46
	v_add_f32_e32 v55, v154, v31
	;; [unrolled: 1-line block ×4, first 2 shown]
	v_fmac_f32_e32 v176, 0xbf7ee86f, v19
	v_add_f32_e32 v31, v58, v46
	v_add_f32_e32 v46, v57, v56
	v_fma_f32 v56, 0xbe8c1d8e, v28, -v175
	v_fma_f32 v57, 0x3f3d2fb0, v49, -v166
	v_add_f32_e32 v58, v167, v54
	v_fmac_f32_e32 v179, 0xbf4c4adb, v18
	v_fmamk_f32 v160, v30, 0x3eb8f4ab, v192
	v_add_f32_e32 v46, v56, v46
	v_fma_f32 v56, 0x3f3d2fb0, v29, -v177
	v_add_f32_e32 v54, v57, v31
	v_add_f32_e32 v31, v170, v58
	;; [unrolled: 1-line block ×3, first 2 shown]
	v_fma_f32 v58, 0x3f3d2fb0, v25, -v186
	v_add_f32_e32 v46, v56, v46
	v_fma_f32 v56, 0x3f6eb680, v48, -v180
	v_mul_f32_e32 v129, 0x3f3d2fb0, v129
	v_fmac_f32_e32 v169, 0xbf06c442, v24
	v_add_f32_e32 v57, v179, v57
	v_fmac_f32_e32 v181, 0xbe3c28d5, v21
	v_add_f32_e32 v46, v56, v46
	v_fma_f32 v56, 0x3dbcf732, v47, -v182
	v_add_f32_e32 v160, v45, v160
	v_fmamk_f32 v194, v19, 0x3f2c7751, v129
	v_mul_f32_e32 v130, 0x3ee437d1, v130
	v_add_f32_e32 v60, v181, v57
	v_add_f32_e32 v46, v56, v46
	;; [unrolled: 1-line block ×3, first 2 shown]
	v_fma_f32 v58, 0x3dbcf732, v26, -v188
	v_add_f32_e32 v57, v169, v31
	v_fmac_f32_e32 v192, 0xbeb8f4ab, v30
	v_fma_f32 v25, 0x3f6eb680, v25, -v140
	v_add_f32_e32 v160, v194, v160
	v_add_f32_e32 v31, v58, v56
	v_fma_f32 v58, 0xbf1a4643, v27, -v191
	v_fmamk_f32 v194, v18, 0x3f65296c, v130
	v_mul_f32_e32 v135, 0x3dbcf732, v135
	v_add_f32_e32 v45, v45, v192
	v_fmac_f32_e32 v129, 0xbf2c7751, v19
	v_add_f32_e32 v30, v58, v31
	v_fma_f32 v31, 0xbf7ba420, v28, -v193
	v_add_f32_e32 v25, v44, v25
	v_fma_f32 v26, 0x3f3d2fb0, v26, -v71
	v_add_f32_e32 v160, v194, v160
	v_fmamk_f32 v194, v21, 0x3f7ee86f, v135
	v_mul_f32_e32 v136, 0xbe8c1d8e, v136
	v_add_f32_e32 v19, v31, v30
	v_add_f32_e32 v31, v129, v45
	v_fmac_f32_e32 v130, 0xbf65296c, v18
	v_add_f32_e32 v18, v26, v25
	v_fma_f32 v25, 0x3ee437d1, v27, -v110
	v_add_f32_e32 v160, v194, v160
	v_fmamk_f32 v194, v20, 0x3f763a35, v136
	v_mul_f32_e32 v143, 0xbf1a4643, v143
	v_fma_f32 v30, 0xbf59a7d5, v29, -v190
	v_add_f32_e32 v26, v130, v31
	v_fmac_f32_e32 v135, 0xbf7ee86f, v21
	v_add_f32_e32 v18, v25, v18
	v_fma_f32 v25, 0x3dbcf732, v28, -v111
	v_add_f32_e32 v160, v194, v160
	v_fmamk_f32 v194, v22, 0x3f4c4adb, v143
	v_mul_f32_e32 v76, 0xbf59a7d5, v76
	v_fma_f32 v59, 0xbf59a7d5, v49, -v184
	v_fmac_f32_e32 v183, 0x3f06c442, v20
	v_add_f32_e32 v19, v30, v19
	v_fma_f32 v21, 0xbe8c1d8e, v48, -v195
	v_add_f32_e32 v26, v135, v26
	v_fmac_f32_e32 v136, 0xbf763a35, v20
	v_add_f32_e32 v18, v25, v18
	v_fma_f32 v20, 0xbe8c1d8e, v29, -v70
	v_add_f32_e32 v160, v194, v160
	v_fmamk_f32 v137, v23, 0x3f06c442, v76
	v_mul_f32_e32 v72, 0xbf7ba420, v142
	v_add_f32_e32 v56, v59, v46
	v_add_f32_e32 v46, v183, v60
	v_fmac_f32_e32 v185, 0x3f763a35, v22
	v_add_f32_e32 v19, v21, v19
	v_fma_f32 v21, 0x3ee437d1, v47, -v196
	v_add_f32_e32 v25, v136, v26
	v_fmac_f32_e32 v143, 0xbf4c4adb, v22
	v_add_f32_e32 v18, v20, v18
	v_fma_f32 v20, 0xbf1a4643, v48, -v61
	v_mov_b32_e32 v22, 51
	v_add_f32_e32 v73, v137, v160
	v_fmamk_f32 v66, v24, 0x3e3c28d5, v72
	v_add_f32_e32 v46, v185, v46
	v_fmac_f32_e32 v187, 0x3f65296c, v23
	v_add_f32_e32 v21, v21, v19
	v_add_f32_e32 v19, v143, v25
	v_fmac_f32_e32 v76, 0xbf06c442, v23
	v_add_f32_e32 v18, v20, v18
	v_fma_f32 v20, 0xbf59a7d5, v47, -v64
	v_mul_u32_u24_sdwa v22, v235, v22 dst_sel:DWORD dst_unused:UNUSED_PAD src0_sel:WORD_0 src1_sel:DWORD
	v_add_f32_e32 v53, v66, v73
	v_add_f32_e32 v27, v187, v46
	v_fmac_f32_e32 v189, 0x3eb8f4ab, v24
	v_fma_f32 v23, 0x3f6eb680, v49, -v197
	v_add_f32_e32 v25, v76, v19
	v_fmac_f32_e32 v72, 0xbe3c28d5, v24
	v_add_f32_e32 v20, v20, v18
	v_fma_f32 v24, 0xbf7ba420, v49, -v65
	v_add_lshl_u32 v22, v22, v234, 3
	v_add_f32_e32 v19, v189, v27
	v_add_f32_e32 v18, v23, v21
	;; [unrolled: 1-line block ×4, first 2 shown]
	ds_write2_b64 v22, v[50:51], v[52:53] offset1:3
	ds_write2_b64 v22, v[113:114], v[145:146] offset0:6 offset1:9
	ds_write2_b64 v22, v[16:17], v[14:15] offset0:12 offset1:15
	;; [unrolled: 1-line block ×7, first 2 shown]
	ds_write_b64 v22, v[20:21] offset:384
.LBB0_21:
	s_or_b32 exec_lo, exec_lo, s1
	s_waitcnt lgkmcnt(0)
	s_barrier
	buffer_gl0_inv
	ds_read2_b64 v[3:6], v131 offset0:102 offset1:153
	ds_read2_b64 v[7:10], v131 offset0:204 offset1:255
	v_add_nc_u32_e32 v1, 0x800, v131
	v_add_nc_u32_e32 v2, 0xc00, v131
	ds_read2_b64 v[11:14], v1 offset0:50 offset1:101
	ds_read2_b64 v[15:18], v1 offset0:152 offset1:203
	;; [unrolled: 1-line block ×3, first 2 shown]
	v_add_nc_u32_e32 v0, 0x1000, v131
	ds_read2_b64 v[27:30], v131 offset1:51
	s_mov_b32 s2, 0x16f26017
	s_mov_b32 s3, 0x3f56f260
	s_mul_i32 s1, s9, 0xee
	ds_read2_b64 v[23:26], v0 offset0:100 offset1:151
	s_waitcnt lgkmcnt(0)
	s_barrier
	buffer_gl0_inv
	s_mul_hi_u32 s4, s8, 0xee
	s_add_i32 s5, s4, s1
	v_mul_f32_e32 v31, v41, v4
	v_mul_f32_e32 v44, v41, v3
	;; [unrolled: 1-line block ×4, first 2 shown]
	s_mul_i32 s4, s8, 0xee
	v_fmac_f32_e32 v31, v40, v3
	v_fma_f32 v3, v40, v4, -v44
	v_fmac_f32_e32 v45, v42, v7
	v_fma_f32 v4, v42, v8, -v46
	v_mul_f32_e32 v7, v37, v12
	v_mul_f32_e32 v8, v37, v11
	;; [unrolled: 1-line block ×5, first 2 shown]
	v_fmac_f32_e32 v7, v36, v11
	v_fma_f32 v8, v36, v12, -v8
	v_fma_f32 v11, v38, v16, -v46
	v_fmac_f32_e32 v47, v32, v19
	v_mul_f32_e32 v12, v33, v19
	v_mul_f32_e32 v16, v35, v23
	;; [unrolled: 1-line block ×4, first 2 shown]
	v_fmac_f32_e32 v44, v38, v15
	v_mul_f32_e32 v15, v35, v24
	v_fma_f32 v12, v32, v20, -v12
	v_fma_f32 v16, v34, v24, -v16
	v_fmac_f32_e32 v19, v40, v5
	v_fma_f32 v20, v40, v6, -v41
	v_mul_f32_e32 v5, v43, v9
	v_mul_f32_e32 v24, v37, v14
	;; [unrolled: 1-line block ×4, first 2 shown]
	v_fmac_f32_e32 v15, v34, v23
	v_mul_f32_e32 v23, v43, v10
	v_fma_f32 v40, v42, v10, -v5
	v_fmac_f32_e32 v24, v36, v13
	v_fma_f32 v36, v36, v14, -v6
	v_fmac_f32_e32 v37, v38, v17
	v_mul_f32_e32 v5, v39, v17
	v_mul_f32_e32 v17, v33, v22
	;; [unrolled: 1-line block ×3, first 2 shown]
	v_fmac_f32_e32 v23, v42, v9
	v_mul_f32_e32 v9, v35, v25
	v_fma_f32 v18, v38, v18, -v5
	v_fmac_f32_e32 v17, v32, v21
	v_fma_f32 v21, v32, v22, -v6
	v_add_f32_e32 v5, v31, v15
	v_add_f32_e32 v6, v3, v16
	;; [unrolled: 1-line block ×4, first 2 shown]
	v_mul_f32_e32 v33, v35, v26
	v_fma_f32 v22, v34, v26, -v9
	v_sub_f32_e32 v9, v31, v15
	v_sub_f32_e32 v3, v3, v16
	;; [unrolled: 1-line block ×4, first 2 shown]
	v_add_f32_e32 v12, v7, v44
	v_add_f32_e32 v15, v8, v11
	v_sub_f32_e32 v7, v44, v7
	v_sub_f32_e32 v8, v11, v8
	v_add_f32_e32 v11, v10, v5
	v_add_f32_e32 v16, v13, v6
	v_fmac_f32_e32 v33, v34, v25
	v_sub_f32_e32 v25, v10, v5
	v_sub_f32_e32 v26, v13, v6
	v_sub_f32_e32 v5, v5, v12
	v_sub_f32_e32 v6, v6, v15
	v_sub_f32_e32 v10, v12, v10
	v_sub_f32_e32 v13, v15, v13
	v_add_f32_e32 v31, v7, v14
	v_add_f32_e32 v32, v8, v4
	v_sub_f32_e32 v34, v7, v14
	v_sub_f32_e32 v35, v8, v4
	v_add_f32_e32 v11, v12, v11
	v_add_f32_e32 v12, v15, v16
	v_sub_f32_e32 v7, v9, v7
	v_sub_f32_e32 v8, v3, v8
	;; [unrolled: 1-line block ×4, first 2 shown]
	v_add_f32_e32 v9, v31, v9
	v_add_f32_e32 v16, v32, v3
	;; [unrolled: 1-line block ×4, first 2 shown]
	v_mul_f32_e32 v5, 0x3f4a47b2, v5
	v_mul_f32_e32 v6, 0x3f4a47b2, v6
	v_mul_f32_e32 v27, 0x3d64c772, v10
	v_mul_f32_e32 v28, 0x3d64c772, v13
	v_mul_f32_e32 v31, 0x3f08b237, v34
	v_mul_f32_e32 v32, 0x3f08b237, v35
	v_mul_f32_e32 v34, 0xbf5ff5aa, v14
	v_mul_f32_e32 v35, 0xbf5ff5aa, v15
	v_fmamk_f32 v11, v11, 0xbf955555, v3
	v_fmamk_f32 v12, v12, 0xbf955555, v4
	v_fmamk_f32 v10, v10, 0x3d64c772, v5
	v_fmamk_f32 v13, v13, 0x3d64c772, v6
	v_fma_f32 v27, 0x3f3bfb3b, v25, -v27
	v_fma_f32 v28, 0x3f3bfb3b, v26, -v28
	;; [unrolled: 1-line block ×4, first 2 shown]
	v_fmamk_f32 v25, v7, 0xbeae86e6, v31
	v_fmamk_f32 v26, v8, 0xbeae86e6, v32
	v_fma_f32 v14, 0xbf5ff5aa, v14, -v31
	v_fma_f32 v15, 0xbf5ff5aa, v15, -v32
	;; [unrolled: 1-line block ×4, first 2 shown]
	v_add_f32_e32 v34, v10, v11
	v_add_f32_e32 v35, v13, v12
	;; [unrolled: 1-line block ×4, first 2 shown]
	v_fmac_f32_e32 v25, 0xbee1c552, v9
	v_fmac_f32_e32 v26, 0xbee1c552, v16
	;; [unrolled: 1-line block ×4, first 2 shown]
	v_add_f32_e32 v28, v5, v11
	v_add_f32_e32 v38, v6, v12
	v_fmac_f32_e32 v32, 0xbee1c552, v16
	v_fmac_f32_e32 v31, 0xbee1c552, v9
	v_add_f32_e32 v5, v26, v34
	v_sub_f32_e32 v6, v35, v25
	v_sub_f32_e32 v9, v13, v15
	v_add_f32_e32 v10, v14, v27
	v_add_f32_e32 v11, v15, v13
	v_sub_f32_e32 v12, v27, v14
	v_sub_f32_e32 v15, v34, v26
	v_add_f32_e32 v16, v25, v35
	v_add_f32_e32 v25, v19, v33
	;; [unrolled: 1-line block ×3, first 2 shown]
	v_sub_f32_e32 v20, v20, v22
	v_add_f32_e32 v22, v23, v17
	v_add_f32_e32 v27, v40, v21
	v_add_f32_e32 v7, v32, v28
	v_sub_f32_e32 v8, v38, v31
	v_sub_f32_e32 v13, v28, v32
	v_add_f32_e32 v14, v31, v38
	v_sub_f32_e32 v19, v19, v33
	v_sub_f32_e32 v17, v23, v17
	;; [unrolled: 1-line block ×3, first 2 shown]
	v_add_f32_e32 v23, v24, v37
	v_add_f32_e32 v28, v36, v18
	v_sub_f32_e32 v24, v37, v24
	v_sub_f32_e32 v18, v18, v36
	v_add_f32_e32 v31, v22, v25
	v_add_f32_e32 v32, v27, v26
	v_sub_f32_e32 v33, v22, v25
	v_sub_f32_e32 v34, v27, v26
	;; [unrolled: 1-line block ×6, first 2 shown]
	v_add_f32_e32 v35, v24, v17
	v_add_f32_e32 v36, v18, v21
	v_sub_f32_e32 v37, v24, v17
	v_sub_f32_e32 v38, v18, v21
	;; [unrolled: 1-line block ×3, first 2 shown]
	v_add_f32_e32 v23, v23, v31
	v_add_f32_e32 v28, v28, v32
	v_sub_f32_e32 v21, v21, v20
	v_sub_f32_e32 v24, v19, v24
	;; [unrolled: 1-line block ×3, first 2 shown]
	v_add_f32_e32 v19, v35, v19
	v_add_f32_e32 v20, v36, v20
	;; [unrolled: 1-line block ×4, first 2 shown]
	v_mul_f32_e32 v25, 0x3f4a47b2, v25
	v_mul_f32_e32 v26, 0x3f4a47b2, v26
	;; [unrolled: 1-line block ×8, first 2 shown]
	v_fmamk_f32 v23, v23, 0xbf955555, v17
	v_fmamk_f32 v28, v28, 0xbf955555, v18
	;; [unrolled: 1-line block ×4, first 2 shown]
	v_fma_f32 v29, 0x3f3bfb3b, v33, -v29
	v_fma_f32 v30, 0x3f3bfb3b, v34, -v30
	;; [unrolled: 1-line block ×4, first 2 shown]
	v_fmamk_f32 v33, v24, 0xbeae86e6, v31
	v_fmamk_f32 v34, v39, 0xbeae86e6, v32
	v_fma_f32 v35, 0x3eae86e6, v24, -v35
	v_fma_f32 v36, 0x3eae86e6, v39, -v36
	;; [unrolled: 1-line block ×4, first 2 shown]
	v_add_f32_e32 v37, v22, v23
	v_add_f32_e32 v38, v27, v28
	;; [unrolled: 1-line block ×6, first 2 shown]
	v_fmac_f32_e32 v33, 0xbee1c552, v19
	v_fmac_f32_e32 v34, 0xbee1c552, v20
	;; [unrolled: 1-line block ×6, first 2 shown]
	v_add_f32_e32 v19, v34, v37
	v_sub_f32_e32 v20, v38, v33
	v_add_f32_e32 v21, v36, v30
	v_sub_f32_e32 v22, v28, v35
	v_sub_f32_e32 v23, v27, v32
	v_add_f32_e32 v24, v31, v29
	v_add_f32_e32 v25, v32, v27
	v_sub_f32_e32 v26, v29, v31
	v_sub_f32_e32 v27, v30, v36
	v_add_f32_e32 v28, v35, v28
	v_sub_f32_e32 v29, v37, v34
	v_add_f32_e32 v30, v33, v38
	ds_write2_b64 v131, v[3:4], v[5:6] offset1:51
	ds_write2_b64 v131, v[7:8], v[9:10] offset0:102 offset1:153
	ds_write2_b64 v131, v[11:12], v[13:14] offset0:204 offset1:255
	;; [unrolled: 1-line block ×6, first 2 shown]
	s_waitcnt lgkmcnt(0)
	s_barrier
	buffer_gl0_inv
	ds_read2_b64 v[3:6], v1 offset0:50 offset1:101
	ds_read2_b64 v[7:10], v1 offset0:152 offset1:203
	ds_read2_b64 v[11:14], v2 offset0:126 offset1:177
	ds_read2_b64 v[15:18], v131 offset1:51
	ds_read2_b64 v[19:22], v0 offset0:100 offset1:151
	ds_read2_b64 v[23:26], v131 offset0:102 offset1:153
	;; [unrolled: 1-line block ×3, first 2 shown]
	s_lshl_b64 s[4:5], s[4:5], 3
	s_mul_i32 s1, s9, 0xfffffe57
	s_waitcnt lgkmcnt(6)
	v_mul_f32_e32 v31, v122, v6
	v_mul_f32_e32 v32, v122, v5
	s_waitcnt lgkmcnt(5)
	v_mul_f32_e32 v33, v116, v8
	s_waitcnt lgkmcnt(4)
	v_mul_f32_e32 v34, v126, v12
	v_mul_f32_e32 v36, v120, v14
	v_fmac_f32_e32 v31, v121, v5
	v_mul_f32_e32 v5, v116, v7
	v_fma_f32 v6, v121, v6, -v32
	v_fmac_f32_e32 v33, v115, v7
	v_mul_f32_e32 v32, v128, v10
	v_mul_f32_e32 v7, v128, v9
	v_fma_f32 v8, v115, v8, -v5
	v_mul_f32_e32 v5, v126, v11
	v_fmac_f32_e32 v34, v125, v11
	v_fmac_f32_e32 v32, v127, v9
	v_fma_f32 v35, v127, v10, -v7
	s_waitcnt lgkmcnt(2)
	v_mul_f32_e32 v38, v124, v20
	v_fma_f32 v37, v125, v12, -v5
	v_mul_f32_e32 v5, v120, v13
	v_mul_f32_e32 v7, v124, v19
	v_mul_f32_e32 v39, v118, v22
	v_mul_f32_e32 v9, v118, v21
	v_sub_f32_e32 v6, v16, v6
	v_fma_f32 v40, v119, v14, -v5
	v_sub_f32_e32 v5, v15, v31
	v_fmac_f32_e32 v36, v119, v13
	v_fmac_f32_e32 v38, v123, v19
	v_fma_f32 v41, v123, v20, -v7
	v_fmac_f32_e32 v39, v117, v21
	v_sub_f32_e32 v7, v17, v33
	v_fma_f32 v33, v117, v22, -v9
	v_fma_f32 v9, v15, 2.0, -v5
	v_fma_f32 v10, v16, 2.0, -v6
	s_waitcnt lgkmcnt(1)
	v_sub_f32_e32 v15, v25, v34
	v_sub_f32_e32 v16, v26, v37
	;; [unrolled: 1-line block ×5, first 2 shown]
	s_waitcnt lgkmcnt(0)
	v_sub_f32_e32 v19, v27, v36
	v_fma_f32 v21, v25, 2.0, -v15
	v_fma_f32 v22, v26, 2.0, -v16
	v_sub_f32_e32 v20, v28, v40
	v_sub_f32_e32 v25, v29, v38
	;; [unrolled: 1-line block ×5, first 2 shown]
	v_fma_f32 v11, v17, 2.0, -v7
	v_fma_f32 v12, v18, 2.0, -v8
	;; [unrolled: 1-line block ×10, first 2 shown]
	ds_write_b64 v131, v[5:6] offset:2856
	ds_write2_b64 v131, v[9:10], v[11:12] offset1:51
	ds_write2_b64 v1, v[7:8], v[13:14] offset0:152 offset1:203
	ds_write2_b64 v131, v[17:18], v[21:22] offset0:102 offset1:153
	;; [unrolled: 1-line block ×4, first 2 shown]
	ds_write_b64 v131, v[3:4] offset:2448
	ds_write2_b64 v0, v[25:26], v[31:32] offset0:100 offset1:151
	v_add_nc_u32_e32 v7, 0x400, v131
	s_waitcnt lgkmcnt(0)
	s_barrier
	buffer_gl0_inv
	ds_read2_b64 v[3:6], v131 offset1:51
	ds_read2_b64 v[7:10], v7 offset0:110 offset1:161
	v_mad_u64_u32 v[19:20], null, s10, v241, 0
	v_mad_u64_u32 v[21:22], null, s8, v132, 0
	s_waitcnt lgkmcnt(1)
	v_mul_f32_e32 v11, v106, v4
	v_mul_f32_e32 v12, v106, v3
	s_waitcnt lgkmcnt(0)
	v_mul_f32_e32 v17, v102, v8
	v_mul_f32_e32 v13, v102, v7
	;; [unrolled: 1-line block ×3, first 2 shown]
	v_fmac_f32_e32 v11, v105, v3
	v_fma_f32 v12, v105, v4, -v12
	v_fmac_f32_e32 v17, v101, v7
	v_fma_f32 v18, v101, v8, -v13
	v_fmac_f32_e32 v27, v97, v5
	v_cvt_f64_f32_e32 v[3:4], v11
	v_cvt_f64_f32_e32 v[15:16], v12
	ds_read2_b64 v[11:14], v2 offset0:92 offset1:143
	v_cvt_f64_f32_e32 v[7:8], v17
	v_cvt_f64_f32_e32 v[17:18], v18
	s_waitcnt lgkmcnt(0)
	v_mul_f32_e32 v24, v108, v12
	v_mul_f32_e32 v23, v108, v11
	v_mul_f64 v[2:3], v[3:4], s[2:3]
	v_mov_b32_e32 v4, v20
	v_mul_f64 v[15:16], v[15:16], s[2:3]
	v_fmac_f32_e32 v24, v107, v11
	v_fma_f32 v12, v107, v12, -v23
	v_mul_f64 v[7:8], v[7:8], s[2:3]
	v_mul_f64 v[17:18], v[17:18], s[2:3]
	v_mov_b32_e32 v11, v22
	v_mad_u64_u32 v[22:23], null, s11, v241, v[4:5]
	v_cvt_f64_f32_e32 v[23:24], v24
	v_cvt_f64_f32_e32 v[25:26], v12
	v_mad_u64_u32 v[11:12], null, s9, v132, v[11:12]
	v_mov_b32_e32 v20, v22
	v_mov_b32_e32 v22, v11
	v_lshlrev_b64 v[11:12], 3, v[19:20]
	v_mul_f32_e32 v19, v98, v5
	v_cvt_f32_f64_e32 v2, v[2:3]
	v_cvt_f32_f64_e32 v3, v[15:16]
	v_cvt_f64_f32_e32 v[15:16], v27
	v_lshlrev_b64 v[4:5], 3, v[21:22]
	v_fma_f32 v6, v97, v6, -v19
	v_cvt_f32_f64_e32 v7, v[7:8]
	v_cvt_f32_f64_e32 v8, v[17:18]
	v_mul_f64 v[17:18], v[23:24], s[2:3]
	v_mul_f64 v[19:20], v[25:26], s[2:3]
	v_cvt_f64_f32_e32 v[21:22], v6
	v_add_co_u32 v6, s0, s6, v11
	v_add_co_ci_u32_e64 v11, s0, s7, v12, s0
	v_add_co_u32 v4, s0, v6, v4
	v_add_co_ci_u32_e64 v5, s0, v11, v5, s0
	v_mul_f32_e32 v6, v104, v10
	v_add_co_u32 v11, s0, v4, s4
	v_add_co_ci_u32_e64 v12, s0, s5, v5, s0
	global_store_dwordx2 v[4:5], v[2:3], off
	global_store_dwordx2 v[11:12], v[7:8], off
	v_fmac_f32_e32 v6, v103, v9
	v_mul_f32_e32 v2, v104, v9
	v_mul_f64 v[15:16], v[15:16], s[2:3]
	v_mul_f32_e32 v7, v100, v14
	v_cvt_f32_f64_e32 v17, v[17:18]
	v_cvt_f32_f64_e32 v18, v[19:20]
	v_mul_f64 v[19:20], v[21:22], s[2:3]
	v_mul_f32_e32 v8, v100, v13
	v_cvt_f64_f32_e32 v[21:22], v6
	v_fma_f32 v6, v103, v10, -v2
	ds_read2_b64 v[2:5], v131 offset0:102 offset1:153
	v_fmac_f32_e32 v7, v99, v13
	v_fma_f32 v8, v99, v14, -v8
	v_add_co_u32 v23, s0, v11, s4
	v_cvt_f64_f32_e32 v[25:26], v6
	v_cvt_f64_f32_e32 v[27:28], v7
	;; [unrolled: 1-line block ×3, first 2 shown]
	ds_read2_b64 v[6:9], v1 offset0:84 offset1:135
	v_add_co_ci_u32_e64 v24, s0, s5, v12, s0
	ds_read2_b64 v[10:13], v0 offset0:66 offset1:117
	s_mul_hi_u32 s0, s8, 0xfffffe57
	v_cvt_f32_f64_e32 v14, v[15:16]
	s_sub_i32 s0, s0, s8
	s_add_i32 s1, s0, s1
	v_cvt_f32_f64_e32 v15, v[19:20]
	s_mul_i32 s0, s8, 0xfffffe57
	s_waitcnt lgkmcnt(2)
	v_mul_f32_e32 v16, v87, v3
	v_mul_f32_e32 v31, v87, v2
	v_mul_f64 v[19:20], v[21:22], s[2:3]
	v_mul_f32_e32 v35, v85, v5
	s_lshl_b64 s[6:7], s[0:1], 3
	v_fmac_f32_e32 v16, v86, v2
	v_fma_f32 v31, v86, v3, -v31
	v_mul_f64 v[2:3], v[25:26], s[2:3]
	v_mul_f64 v[21:22], v[27:28], s[2:3]
	;; [unrolled: 1-line block ×3, first 2 shown]
	v_cvt_f64_f32_e32 v[27:28], v16
	s_waitcnt lgkmcnt(1)
	v_mul_f32_e32 v16, v90, v7
	v_cvt_f64_f32_e32 v[29:30], v31
	v_mul_f32_e32 v31, v90, v6
	s_waitcnt lgkmcnt(0)
	v_mul_f32_e32 v32, v92, v11
	v_mul_f32_e32 v33, v92, v10
	v_fmac_f32_e32 v16, v89, v6
	v_fmac_f32_e32 v35, v84, v4
	v_fma_f32 v31, v89, v7, -v31
	v_mul_f32_e32 v4, v85, v4
	v_mul_f32_e32 v37, v94, v8
	v_cvt_f64_f32_e32 v[6:7], v16
	v_mul_f32_e32 v16, v94, v9
	v_mul_f32_e32 v38, v96, v13
	;; [unrolled: 1-line block ×3, first 2 shown]
	v_fmac_f32_e32 v32, v91, v10
	v_fma_f32 v33, v91, v11, -v33
	v_cvt_f64_f32_e32 v[10:11], v31
	v_fma_f32 v4, v84, v5, -v4
	v_fma_f32 v37, v93, v9, -v37
	v_fmac_f32_e32 v16, v93, v8
	v_fmac_f32_e32 v38, v95, v12
	v_fma_f32 v39, v95, v13, -v39
	v_cvt_f64_f32_e32 v[31:32], v32
	v_cvt_f64_f32_e32 v[33:34], v33
	;; [unrolled: 1-line block ×8, first 2 shown]
	v_add_co_u32 v0, s0, v23, s6
	v_add_co_ci_u32_e64 v1, s0, s7, v24, s0
	global_store_dwordx2 v[23:24], v[17:18], off
	global_store_dwordx2 v[0:1], v[14:15], off
	v_cvt_f32_f64_e32 v15, v[2:3]
	v_mul_f64 v[2:3], v[27:28], s[2:3]
	v_mul_f64 v[16:17], v[29:30], s[2:3]
	v_mul_f64 v[6:7], v[6:7], s[2:3]
	v_mul_f64 v[10:11], v[10:11], s[2:3]
	v_cvt_f32_f64_e32 v14, v[19:20]
	v_cvt_f32_f64_e32 v18, v[21:22]
	v_mul_f64 v[20:21], v[31:32], s[2:3]
	v_mul_f64 v[22:23], v[33:34], s[2:3]
	;; [unrolled: 1-line block ×4, first 2 shown]
	v_add_co_u32 v0, s0, v0, s4
	v_cvt_f32_f64_e32 v19, v[25:26]
	v_mul_f64 v[24:25], v[35:36], s[2:3]
	v_mul_f64 v[8:9], v[8:9], s[2:3]
	v_add_co_ci_u32_e64 v1, s0, s5, v1, s0
	v_mul_f64 v[26:27], v[37:38], s[2:3]
	v_mul_f64 v[28:29], v[39:40], s[2:3]
	v_add_co_u32 v30, s0, v0, s4
	v_add_co_ci_u32_e64 v31, s0, s5, v1, s0
	v_cvt_f32_f64_e32 v2, v[2:3]
	v_cvt_f32_f64_e32 v3, v[16:17]
	v_add_co_u32 v16, s0, v30, s6
	v_add_co_ci_u32_e64 v17, s0, s7, v31, s0
	v_cvt_f32_f64_e32 v6, v[6:7]
	v_cvt_f32_f64_e32 v7, v[10:11]
	;; [unrolled: 4-line block ×3, first 2 shown]
	v_cvt_f32_f64_e32 v23, v[4:5]
	v_cvt_f32_f64_e32 v5, v[12:13]
	v_add_co_u32 v12, s0, v10, s4
	v_cvt_f32_f64_e32 v22, v[24:25]
	v_add_co_ci_u32_e64 v13, s0, s5, v11, s0
	v_cvt_f32_f64_e32 v4, v[8:9]
	v_cvt_f32_f64_e32 v8, v[26:27]
	;; [unrolled: 1-line block ×3, first 2 shown]
	global_store_dwordx2 v[0:1], v[14:15], off
	v_add_co_u32 v14, s0, v12, s6
	v_add_co_ci_u32_e64 v15, s0, s7, v13, s0
	global_store_dwordx2 v[30:31], v[18:19], off
	v_add_co_u32 v18, s0, v14, s4
	v_add_co_ci_u32_e64 v19, s0, s5, v15, s0
	;; [unrolled: 3-line block ×3, first 2 shown]
	global_store_dwordx2 v[10:11], v[6:7], off
	global_store_dwordx2 v[12:13], v[20:21], off
	global_store_dwordx2 v[14:15], v[22:23], off
	global_store_dwordx2 v[18:19], v[4:5], off
	global_store_dwordx2 v[0:1], v[8:9], off
	s_and_b32 exec_lo, exec_lo, vcc_lo
	s_cbranch_execz .LBB0_23
; %bb.22:
	global_load_dwordx2 v[6:7], v[78:79], off offset:1632
	v_add_nc_u32_e32 v2, 0x600, v131
	v_add_co_u32 v0, vcc_lo, v0, s6
	v_add_co_ci_u32_e32 v1, vcc_lo, s7, v1, vcc_lo
	ds_read2_b64 v[2:5], v2 offset0:12 offset1:250
	s_waitcnt vmcnt(0) lgkmcnt(0)
	v_mul_f32_e32 v8, v3, v7
	v_mul_f32_e32 v7, v2, v7
	v_fmac_f32_e32 v8, v2, v6
	v_fma_f32 v6, v6, v3, -v7
	v_cvt_f64_f32_e32 v[2:3], v8
	v_cvt_f64_f32_e32 v[6:7], v6
	v_mul_f64 v[2:3], v[2:3], s[2:3]
	v_mul_f64 v[6:7], v[6:7], s[2:3]
	v_cvt_f32_f64_e32 v2, v[2:3]
	v_cvt_f32_f64_e32 v3, v[6:7]
	global_store_dwordx2 v[0:1], v[2:3], off
	global_load_dwordx2 v[2:3], v[82:83], off offset:1488
	v_add_co_u32 v0, vcc_lo, v0, s4
	v_add_co_ci_u32_e32 v1, vcc_lo, s5, v1, vcc_lo
	s_waitcnt vmcnt(0)
	v_mul_f32_e32 v6, v5, v3
	v_mul_f32_e32 v3, v4, v3
	v_fmac_f32_e32 v6, v4, v2
	v_fma_f32 v4, v2, v5, -v3
	v_cvt_f64_f32_e32 v[2:3], v6
	v_cvt_f64_f32_e32 v[4:5], v4
	v_mul_f64 v[2:3], v[2:3], s[2:3]
	v_mul_f64 v[4:5], v[4:5], s[2:3]
	v_cvt_f32_f64_e32 v2, v[2:3]
	v_cvt_f32_f64_e32 v3, v[4:5]
	ds_read_b64 v[4:5], v131 offset:5440
	global_store_dwordx2 v[0:1], v[2:3], off
	global_load_dwordx2 v[2:3], v[80:81], off offset:1344
	v_add_co_u32 v0, vcc_lo, v0, s4
	v_add_co_ci_u32_e32 v1, vcc_lo, s5, v1, vcc_lo
	s_waitcnt vmcnt(0) lgkmcnt(0)
	v_mul_f32_e32 v6, v5, v3
	v_mul_f32_e32 v3, v4, v3
	v_fmac_f32_e32 v6, v4, v2
	v_fma_f32 v4, v2, v5, -v3
	v_cvt_f64_f32_e32 v[2:3], v6
	v_cvt_f64_f32_e32 v[4:5], v4
	v_mul_f64 v[2:3], v[2:3], s[2:3]
	v_mul_f64 v[4:5], v[4:5], s[2:3]
	v_cvt_f32_f64_e32 v2, v[2:3]
	v_cvt_f32_f64_e32 v3, v[4:5]
	global_store_dwordx2 v[0:1], v[2:3], off
.LBB0_23:
	s_endpgm
	.section	.rodata,"a",@progbits
	.p2align	6, 0x0
	.amdhsa_kernel bluestein_single_back_len714_dim1_sp_op_CI_CI
		.amdhsa_group_segment_fixed_size 5712
		.amdhsa_private_segment_fixed_size 32
		.amdhsa_kernarg_size 104
		.amdhsa_user_sgpr_count 6
		.amdhsa_user_sgpr_private_segment_buffer 1
		.amdhsa_user_sgpr_dispatch_ptr 0
		.amdhsa_user_sgpr_queue_ptr 0
		.amdhsa_user_sgpr_kernarg_segment_ptr 1
		.amdhsa_user_sgpr_dispatch_id 0
		.amdhsa_user_sgpr_flat_scratch_init 0
		.amdhsa_user_sgpr_private_segment_size 0
		.amdhsa_wavefront_size32 1
		.amdhsa_uses_dynamic_stack 0
		.amdhsa_system_sgpr_private_segment_wavefront_offset 1
		.amdhsa_system_sgpr_workgroup_id_x 1
		.amdhsa_system_sgpr_workgroup_id_y 0
		.amdhsa_system_sgpr_workgroup_id_z 0
		.amdhsa_system_sgpr_workgroup_info 0
		.amdhsa_system_vgpr_workitem_id 0
		.amdhsa_next_free_vgpr 256
		.amdhsa_next_free_sgpr 20
		.amdhsa_reserve_vcc 1
		.amdhsa_reserve_flat_scratch 0
		.amdhsa_float_round_mode_32 0
		.amdhsa_float_round_mode_16_64 0
		.amdhsa_float_denorm_mode_32 3
		.amdhsa_float_denorm_mode_16_64 3
		.amdhsa_dx10_clamp 1
		.amdhsa_ieee_mode 1
		.amdhsa_fp16_overflow 0
		.amdhsa_workgroup_processor_mode 1
		.amdhsa_memory_ordered 1
		.amdhsa_forward_progress 0
		.amdhsa_shared_vgpr_count 0
		.amdhsa_exception_fp_ieee_invalid_op 0
		.amdhsa_exception_fp_denorm_src 0
		.amdhsa_exception_fp_ieee_div_zero 0
		.amdhsa_exception_fp_ieee_overflow 0
		.amdhsa_exception_fp_ieee_underflow 0
		.amdhsa_exception_fp_ieee_inexact 0
		.amdhsa_exception_int_div_zero 0
	.end_amdhsa_kernel
	.text
.Lfunc_end0:
	.size	bluestein_single_back_len714_dim1_sp_op_CI_CI, .Lfunc_end0-bluestein_single_back_len714_dim1_sp_op_CI_CI
                                        ; -- End function
	.section	.AMDGPU.csdata,"",@progbits
; Kernel info:
; codeLenInByte = 19788
; NumSgprs: 22
; NumVgprs: 256
; ScratchSize: 32
; MemoryBound: 0
; FloatMode: 240
; IeeeMode: 1
; LDSByteSize: 5712 bytes/workgroup (compile time only)
; SGPRBlocks: 2
; VGPRBlocks: 31
; NumSGPRsForWavesPerEU: 22
; NumVGPRsForWavesPerEU: 256
; Occupancy: 4
; WaveLimiterHint : 1
; COMPUTE_PGM_RSRC2:SCRATCH_EN: 1
; COMPUTE_PGM_RSRC2:USER_SGPR: 6
; COMPUTE_PGM_RSRC2:TRAP_HANDLER: 0
; COMPUTE_PGM_RSRC2:TGID_X_EN: 1
; COMPUTE_PGM_RSRC2:TGID_Y_EN: 0
; COMPUTE_PGM_RSRC2:TGID_Z_EN: 0
; COMPUTE_PGM_RSRC2:TIDIG_COMP_CNT: 0
	.text
	.p2alignl 6, 3214868480
	.fill 48, 4, 3214868480
	.type	__hip_cuid_62e5284614fb13ae,@object ; @__hip_cuid_62e5284614fb13ae
	.section	.bss,"aw",@nobits
	.globl	__hip_cuid_62e5284614fb13ae
__hip_cuid_62e5284614fb13ae:
	.byte	0                               ; 0x0
	.size	__hip_cuid_62e5284614fb13ae, 1

	.ident	"AMD clang version 19.0.0git (https://github.com/RadeonOpenCompute/llvm-project roc-6.4.0 25133 c7fe45cf4b819c5991fe208aaa96edf142730f1d)"
	.section	".note.GNU-stack","",@progbits
	.addrsig
	.addrsig_sym __hip_cuid_62e5284614fb13ae
	.amdgpu_metadata
---
amdhsa.kernels:
  - .args:
      - .actual_access:  read_only
        .address_space:  global
        .offset:         0
        .size:           8
        .value_kind:     global_buffer
      - .actual_access:  read_only
        .address_space:  global
        .offset:         8
        .size:           8
        .value_kind:     global_buffer
      - .actual_access:  read_only
        .address_space:  global
        .offset:         16
        .size:           8
        .value_kind:     global_buffer
      - .actual_access:  read_only
        .address_space:  global
        .offset:         24
        .size:           8
        .value_kind:     global_buffer
      - .actual_access:  read_only
        .address_space:  global
        .offset:         32
        .size:           8
        .value_kind:     global_buffer
      - .offset:         40
        .size:           8
        .value_kind:     by_value
      - .address_space:  global
        .offset:         48
        .size:           8
        .value_kind:     global_buffer
      - .address_space:  global
        .offset:         56
        .size:           8
        .value_kind:     global_buffer
      - .address_space:  global
        .offset:         64
        .size:           8
        .value_kind:     global_buffer
      - .address_space:  global
        .offset:         72
        .size:           8
        .value_kind:     global_buffer
      - .offset:         80
        .size:           4
        .value_kind:     by_value
      - .address_space:  global
        .offset:         88
        .size:           8
        .value_kind:     global_buffer
      - .address_space:  global
        .offset:         96
        .size:           8
        .value_kind:     global_buffer
    .group_segment_fixed_size: 5712
    .kernarg_segment_align: 8
    .kernarg_segment_size: 104
    .language:       OpenCL C
    .language_version:
      - 2
      - 0
    .max_flat_workgroup_size: 51
    .name:           bluestein_single_back_len714_dim1_sp_op_CI_CI
    .private_segment_fixed_size: 32
    .sgpr_count:     22
    .sgpr_spill_count: 0
    .symbol:         bluestein_single_back_len714_dim1_sp_op_CI_CI.kd
    .uniform_work_group_size: 1
    .uses_dynamic_stack: false
    .vgpr_count:     256
    .vgpr_spill_count: 7
    .wavefront_size: 32
    .workgroup_processor_mode: 1
amdhsa.target:   amdgcn-amd-amdhsa--gfx1030
amdhsa.version:
  - 1
  - 2
...

	.end_amdgpu_metadata
